;; amdgpu-corpus repo=ROCm/rocFFT kind=compiled arch=gfx950 opt=O3
	.text
	.amdgcn_target "amdgcn-amd-amdhsa--gfx950"
	.amdhsa_code_object_version 6
	.protected	fft_rtc_back_len480_factors_10_8_6_wgs_64_tpt_16_halfLds_sp_op_CI_CI_sbrr_dirReg ; -- Begin function fft_rtc_back_len480_factors_10_8_6_wgs_64_tpt_16_halfLds_sp_op_CI_CI_sbrr_dirReg
	.globl	fft_rtc_back_len480_factors_10_8_6_wgs_64_tpt_16_halfLds_sp_op_CI_CI_sbrr_dirReg
	.p2align	8
	.type	fft_rtc_back_len480_factors_10_8_6_wgs_64_tpt_16_halfLds_sp_op_CI_CI_sbrr_dirReg,@function
fft_rtc_back_len480_factors_10_8_6_wgs_64_tpt_16_halfLds_sp_op_CI_CI_sbrr_dirReg: ; @fft_rtc_back_len480_factors_10_8_6_wgs_64_tpt_16_halfLds_sp_op_CI_CI_sbrr_dirReg
; %bb.0:
	s_load_dwordx4 s[12:15], s[0:1], 0x18
	s_load_dwordx4 s[4:7], s[0:1], 0x0
	;; [unrolled: 1-line block ×3, first 2 shown]
	v_lshrrev_b32_e32 v49, 4, v0
	v_lshl_or_b32 v4, s2, 2, v49
	s_waitcnt lgkmcnt(0)
	s_load_dwordx2 s[18:19], s[12:13], 0x0
	s_load_dwordx2 s[16:17], s[14:15], 0x0
	v_mov_b32_e32 v2, 0
	v_cmp_lt_u64_e64 s[2:3], s[6:7], 2
	v_mov_b32_e32 v5, v2
	s_and_b64 vcc, exec, s[2:3]
	v_mov_b64_e32 v[60:61], 0
	s_cbranch_vccnz .LBB0_8
; %bb.1:
	s_load_dwordx2 s[2:3], s[0:1], 0x10
	s_add_u32 s20, s14, 8
	s_addc_u32 s21, s15, 0
	s_add_u32 s22, s12, 8
	s_addc_u32 s23, s13, 0
	s_waitcnt lgkmcnt(0)
	s_add_u32 s24, s2, 8
	v_mov_b64_e32 v[60:61], 0
	s_addc_u32 s25, s3, 0
	s_mov_b64 s[26:27], 1
	v_mov_b64_e32 v[14:15], v[60:61]
.LBB0_2:                                ; =>This Inner Loop Header: Depth=1
	s_load_dwordx2 s[28:29], s[24:25], 0x0
                                        ; implicit-def: $vgpr16_vgpr17
	s_waitcnt lgkmcnt(0)
	v_or_b32_e32 v3, s29, v5
	v_cmp_ne_u64_e32 vcc, 0, v[2:3]
	s_and_saveexec_b64 s[2:3], vcc
	s_xor_b64 s[30:31], exec, s[2:3]
	s_cbranch_execz .LBB0_4
; %bb.3:                                ;   in Loop: Header=BB0_2 Depth=1
	v_cvt_f32_u32_e32 v1, s28
	v_cvt_f32_u32_e32 v3, s29
	s_sub_u32 s2, 0, s28
	s_subb_u32 s3, 0, s29
	v_fmac_f32_e32 v1, 0x4f800000, v3
	v_rcp_f32_e32 v1, v1
	s_nop 0
	v_mul_f32_e32 v1, 0x5f7ffffc, v1
	v_mul_f32_e32 v3, 0x2f800000, v1
	v_trunc_f32_e32 v3, v3
	v_fmac_f32_e32 v1, 0xcf800000, v3
	v_cvt_u32_f32_e32 v3, v3
	v_cvt_u32_f32_e32 v1, v1
	v_mul_lo_u32 v6, s2, v3
	v_mul_hi_u32 v8, s2, v1
	v_mul_lo_u32 v7, s3, v1
	v_add_u32_e32 v8, v8, v6
	v_mul_lo_u32 v10, s2, v1
	v_add_u32_e32 v11, v8, v7
	v_mul_hi_u32 v6, v1, v10
	v_mul_hi_u32 v9, v1, v11
	v_mul_lo_u32 v8, v1, v11
	v_mov_b32_e32 v7, v2
	v_lshl_add_u64 v[6:7], v[6:7], 0, v[8:9]
	v_mul_hi_u32 v9, v3, v10
	v_mul_lo_u32 v10, v3, v10
	v_add_co_u32_e32 v6, vcc, v6, v10
	v_mul_hi_u32 v8, v3, v11
	s_nop 0
	v_addc_co_u32_e32 v6, vcc, v7, v9, vcc
	v_mov_b32_e32 v7, v2
	s_nop 0
	v_addc_co_u32_e32 v9, vcc, 0, v8, vcc
	v_mul_lo_u32 v8, v3, v11
	v_lshl_add_u64 v[6:7], v[6:7], 0, v[8:9]
	v_add_co_u32_e32 v1, vcc, v1, v6
	v_mul_lo_u32 v8, s2, v1
	s_nop 0
	v_addc_co_u32_e32 v3, vcc, v3, v7, vcc
	v_mul_lo_u32 v6, s2, v3
	v_mul_hi_u32 v7, s2, v1
	v_add_u32_e32 v6, v7, v6
	v_mul_lo_u32 v7, s3, v1
	v_add_u32_e32 v10, v6, v7
	v_mul_hi_u32 v12, v3, v8
	v_mul_lo_u32 v13, v3, v8
	v_mul_hi_u32 v7, v1, v10
	v_mul_lo_u32 v6, v1, v10
	v_mul_hi_u32 v8, v1, v8
	v_mov_b32_e32 v9, v2
	v_lshl_add_u64 v[6:7], v[8:9], 0, v[6:7]
	v_add_co_u32_e32 v6, vcc, v6, v13
	v_mul_hi_u32 v11, v3, v10
	s_nop 0
	v_addc_co_u32_e32 v6, vcc, v7, v12, vcc
	v_mul_lo_u32 v8, v3, v10
	s_nop 0
	v_addc_co_u32_e32 v9, vcc, 0, v11, vcc
	v_mov_b32_e32 v7, v2
	v_lshl_add_u64 v[6:7], v[6:7], 0, v[8:9]
	v_add_co_u32_e32 v1, vcc, v1, v6
	v_mul_hi_u32 v8, v4, v1
	s_nop 0
	v_addc_co_u32_e32 v3, vcc, v3, v7, vcc
	v_mad_u64_u32 v[6:7], s[2:3], v4, v3, 0
	v_mov_b32_e32 v9, v2
	v_lshl_add_u64 v[6:7], v[8:9], 0, v[6:7]
	v_mad_u64_u32 v[10:11], s[2:3], v5, v1, 0
	v_add_co_u32_e32 v1, vcc, v6, v10
	v_mad_u64_u32 v[8:9], s[2:3], v5, v3, 0
	s_nop 0
	v_addc_co_u32_e32 v6, vcc, v7, v11, vcc
	v_mov_b32_e32 v7, v2
	s_nop 0
	v_addc_co_u32_e32 v9, vcc, 0, v9, vcc
	v_lshl_add_u64 v[6:7], v[6:7], 0, v[8:9]
	v_mul_lo_u32 v1, s29, v6
	v_mul_lo_u32 v3, s28, v7
	v_mad_u64_u32 v[8:9], s[2:3], s28, v6, 0
	v_add3_u32 v1, v9, v3, v1
	v_sub_u32_e32 v3, v5, v1
	v_mov_b32_e32 v9, s29
	v_sub_co_u32_e32 v12, vcc, v4, v8
	v_lshl_add_u64 v[10:11], v[6:7], 0, 1
	s_nop 0
	v_subb_co_u32_e64 v3, s[2:3], v3, v9, vcc
	v_subrev_co_u32_e64 v8, s[2:3], s28, v12
	v_subb_co_u32_e32 v1, vcc, v5, v1, vcc
	s_nop 0
	v_subbrev_co_u32_e64 v3, s[2:3], 0, v3, s[2:3]
	v_cmp_le_u32_e64 s[2:3], s29, v3
	v_cmp_le_u32_e32 vcc, s29, v1
	s_nop 0
	v_cndmask_b32_e64 v9, 0, -1, s[2:3]
	v_cmp_le_u32_e64 s[2:3], s28, v8
	s_nop 1
	v_cndmask_b32_e64 v8, 0, -1, s[2:3]
	v_cmp_eq_u32_e64 s[2:3], s29, v3
	s_nop 1
	v_cndmask_b32_e64 v3, v9, v8, s[2:3]
	v_lshl_add_u64 v[8:9], v[6:7], 0, 2
	v_cmp_ne_u32_e64 s[2:3], 0, v3
	s_nop 1
	v_cndmask_b32_e64 v3, v11, v9, s[2:3]
	v_cndmask_b32_e64 v9, 0, -1, vcc
	v_cmp_le_u32_e32 vcc, s28, v12
	s_nop 1
	v_cndmask_b32_e64 v11, 0, -1, vcc
	v_cmp_eq_u32_e32 vcc, s29, v1
	s_nop 1
	v_cndmask_b32_e32 v1, v9, v11, vcc
	v_cmp_ne_u32_e32 vcc, 0, v1
	v_cndmask_b32_e64 v1, v10, v8, s[2:3]
	s_nop 0
	v_cndmask_b32_e32 v17, v7, v3, vcc
	v_cndmask_b32_e32 v16, v6, v1, vcc
.LBB0_4:                                ;   in Loop: Header=BB0_2 Depth=1
	s_andn2_saveexec_b64 s[2:3], s[30:31]
	s_cbranch_execz .LBB0_6
; %bb.5:                                ;   in Loop: Header=BB0_2 Depth=1
	v_cvt_f32_u32_e32 v1, s28
	s_sub_i32 s30, 0, s28
	v_mov_b32_e32 v17, v2
	v_rcp_iflag_f32_e32 v1, v1
	s_nop 0
	v_mul_f32_e32 v1, 0x4f7ffffe, v1
	v_cvt_u32_f32_e32 v1, v1
	v_mul_lo_u32 v3, s30, v1
	v_mul_hi_u32 v3, v1, v3
	v_add_u32_e32 v1, v1, v3
	v_mul_hi_u32 v1, v4, v1
	v_mul_lo_u32 v3, v1, s28
	v_sub_u32_e32 v3, v4, v3
	v_add_u32_e32 v6, 1, v1
	v_subrev_u32_e32 v7, s28, v3
	v_cmp_le_u32_e32 vcc, s28, v3
	s_nop 1
	v_cndmask_b32_e32 v3, v3, v7, vcc
	v_cndmask_b32_e32 v1, v1, v6, vcc
	v_add_u32_e32 v6, 1, v1
	v_cmp_le_u32_e32 vcc, s28, v3
	s_nop 1
	v_cndmask_b32_e32 v16, v1, v6, vcc
.LBB0_6:                                ;   in Loop: Header=BB0_2 Depth=1
	s_or_b64 exec, exec, s[2:3]
	v_mad_u64_u32 v[6:7], s[2:3], v16, s28, 0
	s_load_dwordx2 s[2:3], s[22:23], 0x0
	v_mul_lo_u32 v1, v17, s28
	v_mul_lo_u32 v3, v16, s29
	s_load_dwordx2 s[28:29], s[20:21], 0x0
	s_add_u32 s26, s26, 1
	v_add3_u32 v1, v7, v3, v1
	v_sub_co_u32_e32 v3, vcc, v4, v6
	s_addc_u32 s27, s27, 0
	s_nop 0
	v_subb_co_u32_e32 v1, vcc, v5, v1, vcc
	s_add_u32 s20, s20, 8
	s_waitcnt lgkmcnt(0)
	v_mul_lo_u32 v4, s2, v1
	v_mul_lo_u32 v5, s3, v3
	v_mad_u64_u32 v[60:61], s[2:3], s2, v3, v[60:61]
	s_addc_u32 s21, s21, 0
	v_add3_u32 v61, v5, v61, v4
	v_mul_lo_u32 v1, s28, v1
	v_mul_lo_u32 v4, s29, v3
	v_mad_u64_u32 v[14:15], s[2:3], s28, v3, v[14:15]
	s_add_u32 s22, s22, 8
	v_add3_u32 v15, v4, v15, v1
	s_addc_u32 s23, s23, 0
	v_mov_b64_e32 v[4:5], s[6:7]
	s_add_u32 s24, s24, 8
	v_cmp_ge_u64_e32 vcc, s[26:27], v[4:5]
	s_addc_u32 s25, s25, 0
	s_cbranch_vccnz .LBB0_9
; %bb.7:                                ;   in Loop: Header=BB0_2 Depth=1
	v_mov_b64_e32 v[4:5], v[16:17]
	s_branch .LBB0_2
.LBB0_8:
	v_mov_b64_e32 v[14:15], v[60:61]
	v_mov_b64_e32 v[16:17], v[4:5]
.LBB0_9:
	s_load_dwordx2 s[0:1], s[0:1], 0x28
	s_lshl_b64 s[6:7], s[6:7], 3
	s_add_u32 s2, s14, s6
	s_addc_u32 s3, s15, s7
	v_and_b32_e32 v112, 15, v0
	s_waitcnt lgkmcnt(0)
	v_cmp_gt_u64_e32 vcc, s[0:1], v[16:17]
	v_cmp_le_u64_e64 s[0:1], s[0:1], v[16:17]
                                        ; implicit-def: $vgpr114
                                        ; implicit-def: $vgpr115
                                        ; implicit-def: $vgpr113
	s_and_saveexec_b64 s[14:15], s[0:1]
	s_xor_b64 s[0:1], exec, s[14:15]
; %bb.10:
	v_and_b32_e32 v112, 15, v0
	v_or_b32_e32 v114, 16, v112
	v_or_b32_e32 v115, 32, v112
	;; [unrolled: 1-line block ×3, first 2 shown]
                                        ; implicit-def: $vgpr60_vgpr61
; %bb.11:
	s_or_saveexec_b64 s[0:1], s[0:1]
                                        ; implicit-def: $vgpr68
                                        ; implicit-def: $vgpr56
                                        ; implicit-def: $vgpr50
                                        ; implicit-def: $vgpr48
                                        ; implicit-def: $vgpr18
                                        ; implicit-def: $vgpr7
                                        ; implicit-def: $vgpr12
                                        ; implicit-def: $vgpr4
                                        ; implicit-def: $vgpr26
                                        ; implicit-def: $vgpr2
                                        ; implicit-def: $vgpr8
                                        ; implicit-def: $vgpr0
                                        ; implicit-def: $vgpr44
                                        ; implicit-def: $vgpr20
                                        ; implicit-def: $vgpr22
                                        ; implicit-def: $vgpr40
                                        ; implicit-def: $vgpr30
                                        ; implicit-def: $vgpr10
                                        ; implicit-def: $vgpr24
                                        ; implicit-def: $vgpr74
                                        ; implicit-def: $vgpr54
                                        ; implicit-def: $vgpr58
                                        ; implicit-def: $vgpr76
                                        ; implicit-def: $vgpr62
                                        ; implicit-def: $vgpr42
                                        ; implicit-def: $vgpr38
                                        ; implicit-def: $vgpr66
                                        ; implicit-def: $vgpr36
                                        ; implicit-def: $vgpr46
                                        ; implicit-def: $vgpr52
                                        ; implicit-def: $vgpr28
                                        ; implicit-def: $vgpr32
                                        ; implicit-def: $vgpr34
	s_xor_b64 exec, exec, s[0:1]
	s_cbranch_execz .LBB0_13
; %bb.12:
	s_add_u32 s6, s12, s6
	s_addc_u32 s7, s13, s7
	s_load_dwordx2 s[6:7], s[6:7], 0x0
	v_or_b32_e32 v113, 48, v112
	v_or_b32_e32 v9, 0x60, v112
	v_or_b32_e32 v11, 0x90, v112
	v_or_b32_e32 v13, 0xc0, v112
	s_waitcnt lgkmcnt(0)
	v_mul_lo_u32 v2, s7, v16
	v_mul_lo_u32 v3, s6, v17
	v_mad_u64_u32 v[0:1], s[6:7], s6, v16, 0
	v_add3_u32 v1, v1, v3, v2
	v_mad_u64_u32 v[2:3], s[6:7], s18, v112, 0
	v_mov_b32_e32 v4, v3
	v_mad_u64_u32 v[4:5], s[6:7], s19, v112, v[4:5]
	v_mov_b32_e32 v3, v4
	v_mad_u64_u32 v[4:5], s[6:7], s18, v113, 0
	v_mov_b32_e32 v6, v5
	v_mad_u64_u32 v[6:7], s[6:7], s19, v113, v[6:7]
	v_mov_b32_e32 v5, v6
	v_mad_u64_u32 v[6:7], s[6:7], s18, v9, 0
	v_mov_b32_e32 v8, v7
	v_lshl_add_u64 v[0:1], v[0:1], 3, s[8:9]
	v_mad_u64_u32 v[8:9], s[6:7], s19, v9, v[8:9]
	v_lshl_add_u64 v[0:1], v[60:61], 3, v[0:1]
	v_mov_b32_e32 v7, v8
	v_lshl_add_u64 v[8:9], v[6:7], 3, v[0:1]
	v_mad_u64_u32 v[6:7], s[6:7], s18, v11, 0
	v_mov_b32_e32 v10, v7
	v_mad_u64_u32 v[10:11], s[6:7], s19, v11, v[10:11]
	v_mov_b32_e32 v7, v10
	;; [unrolled: 2-line block ×3, first 2 shown]
	v_mad_u64_u32 v[12:13], s[6:7], s19, v13, v[12:13]
	v_or_b32_e32 v19, 0xf0, v112
	v_mov_b32_e32 v11, v12
	v_mad_u64_u32 v[12:13], s[6:7], s18, v19, 0
	v_mov_b32_e32 v18, v13
	v_mad_u64_u32 v[18:19], s[6:7], s19, v19, v[18:19]
	v_or_b32_e32 v21, 0x120, v112
	v_mov_b32_e32 v13, v18
	v_mad_u64_u32 v[18:19], s[6:7], s18, v21, 0
	v_mov_b32_e32 v20, v19
	;; [unrolled: 5-line block ×8, first 2 shown]
	v_mad_u64_u32 v[32:33], s[6:7], s19, v33, v[32:33]
	v_mov_b32_e32 v31, v32
	v_lshl_add_u64 v[30:31], v[30:31], 3, v[0:1]
	v_or_b32_e32 v33, 0xa0, v112
	global_load_dwordx2 v[56:57], v[30:31], off
	v_mad_u64_u32 v[30:31], s[6:7], s18, v33, 0
	v_mov_b32_e32 v32, v31
	v_mad_u64_u32 v[32:33], s[6:7], s19, v33, v[32:33]
	v_or_b32_e32 v35, 0xd0, v112
	v_mov_b32_e32 v31, v32
	v_mad_u64_u32 v[32:33], s[6:7], s18, v35, 0
	v_mov_b32_e32 v34, v33
	v_mad_u64_u32 v[34:35], s[6:7], s19, v35, v[34:35]
	v_or_b32_e32 v37, 0x100, v112
	v_mov_b32_e32 v33, v34
	;; [unrolled: 5-line block ×16, first 2 shown]
	v_mad_u64_u32 v[66:67], s[6:7], s18, v68, 0
	v_mov_b32_e32 v48, v67
	v_mad_u64_u32 v[68:69], s[6:7], s19, v68, v[48:49]
	v_lshl_add_u64 v[60:61], v[60:61], 3, v[0:1]
	v_mov_b32_e32 v67, v68
	v_lshl_add_u64 v[70:71], v[2:3], 3, v[0:1]
	v_lshl_add_u64 v[74:75], v[6:7], 3, v[0:1]
	v_lshl_add_u64 v[10:11], v[10:11], 3, v[0:1]
	v_lshl_add_u64 v[76:77], v[18:19], 3, v[0:1]
	v_lshl_add_u64 v[82:83], v[24:25], 3, v[0:1]
	v_lshl_add_u64 v[84:85], v[28:29], 3, v[0:1]
	v_lshl_add_u64 v[86:87], v[30:31], 3, v[0:1]
	v_lshl_add_u64 v[88:89], v[32:33], 3, v[0:1]
	v_lshl_add_u64 v[90:91], v[34:35], 3, v[0:1]
	v_lshl_add_u64 v[94:95], v[38:39], 3, v[0:1]
	v_lshl_add_u64 v[24:25], v[44:45], 3, v[0:1]
	v_lshl_add_u64 v[28:29], v[46:47], 3, v[0:1]
	v_lshl_add_u64 v[30:31], v[50:51], 3, v[0:1]
	v_lshl_add_u64 v[32:33], v[54:55], 3, v[0:1]
	v_lshl_add_u64 v[34:35], v[58:59], 3, v[0:1]
	v_lshl_add_u64 v[38:39], v[62:63], 3, v[0:1]
	v_lshl_add_u64 v[50:51], v[64:65], 3, v[0:1]
	v_lshl_add_u64 v[72:73], v[4:5], 3, v[0:1]
	v_lshl_add_u64 v[12:13], v[12:13], 3, v[0:1]
	v_lshl_add_u64 v[78:79], v[20:21], 3, v[0:1]
	v_lshl_add_u64 v[80:81], v[22:23], 3, v[0:1]
	v_lshl_add_u64 v[26:27], v[26:27], 3, v[0:1]
	v_lshl_add_u64 v[92:93], v[36:37], 3, v[0:1]
	v_lshl_add_u64 v[40:41], v[40:41], 3, v[0:1]
	v_lshl_add_u64 v[96:97], v[42:43], 3, v[0:1]
	v_lshl_add_u64 v[44:45], v[52:53], 3, v[0:1]
	v_lshl_add_u64 v[58:59], v[66:67], 3, v[0:1]
	global_load_dwordx2 v[4:5], v[32:33], off
	global_load_dwordx2 v[0:1], v[38:39], off
	;; [unrolled: 1-line block ×15, first 2 shown]
                                        ; kill: killed $vgpr76_vgpr77
                                        ; kill: killed $vgpr28_vgpr29
                                        ; kill: killed $vgpr38_vgpr39
                                        ; kill: killed $vgpr10_vgpr11
                                        ; kill: killed $vgpr78_vgpr79
                                        ; kill: killed $vgpr8_vgpr9
                                        ; kill: killed $vgpr30_vgpr31
                                        ; kill: killed $vgpr50_vgpr51
                                        ; kill: killed $vgpr74_vgpr75
                                        ; kill: killed $vgpr72_vgpr73
                                        ; kill: killed $vgpr32_vgpr33
                                        ; kill: killed $vgpr70_vgpr71
                                        ; kill: killed $vgpr34_vgpr35
                                        ; kill: killed $vgpr24_vgpr25
                                        ; kill: killed $vgpr60_vgpr61
	s_nop 0
	global_load_dwordx2 v[76:77], v[12:13], off
	global_load_dwordx2 v[60:61], v[58:59], off
	;; [unrolled: 1-line block ×14, first 2 shown]
	s_waitcnt vmcnt(29)
	v_mov_b32_e32 v41, v56
	v_mov_b32_e32 v48, v57
	s_waitcnt vmcnt(28)
	v_mov_b32_e32 v12, v5
	s_waitcnt vmcnt(27)
	;; [unrolled: 2-line block ×6, first 2 shown]
	v_mov_b32_e32 v59, v98
	v_mov_b32_e32 v56, v99
	s_waitcnt vmcnt(19)
	v_mov_b32_e32 v13, v19
	s_waitcnt vmcnt(17)
	;; [unrolled: 2-line block ×3, first 2 shown]
	v_mov_b32_e32 v27, v2
	v_mov_b32_e32 v2, v65
	s_waitcnt vmcnt(12)
	v_mov_b32_e32 v8, v60
	v_mov_b32_e32 v1, v61
	s_waitcnt vmcnt(10)
	;; [unrolled: 3-line block ×3, first 2 shown]
	v_mov_b32_e32 v40, v51
.LBB0_13:
	s_or_b64 exec, exec, s[0:1]
	s_mov_b32 s8, 0x3f737871
	v_mov_b32_e32 v57, v37
	v_mov_b32_e32 v60, v53
	;; [unrolled: 1-line block ×3, first 2 shown]
	s_mov_b32 s9, 0x3f167918
	v_pk_add_f32 v[64:65], v[36:37], v[46:47]
	v_add_f32_e32 v6, v59, v52
	v_pk_add_f32 v[86:87], v[56:57], v[60:61] neg_lo:[0,1] neg_hi:[0,1]
	s_mov_b32 s0, s9
	s_mov_b32 s1, s8
	v_add_f32_e32 v84, v68, v59
	v_fma_f32 v80, -0.5, v64, v68
	v_fmac_f32_e32 v68, -0.5, v6
	v_pk_mul_f32 v[60:61], v[86:87], s[0:1]
	v_mov_b32_e32 v69, v52
	v_add_f32_e32 v6, v61, v68
	v_sub_f32_e32 v51, v68, v61
	v_sub_f32_e32 v96, v6, v60
	v_add_f32_e32 v97, v60, v51
	v_mov_b32_e32 v60, v36
	v_mov_b32_e32 v61, v46
	;; [unrolled: 1-line block ×3, first 2 shown]
	v_pk_add_f32 v[98:99], v[60:61], v[68:69] neg_lo:[0,1] neg_hi:[0,1]
	v_pk_add_f32 v[60:61], v[76:77], v[62:63] neg_lo:[0,1] neg_hi:[0,1]
	;; [unrolled: 1-line block ×4, first 2 shown]
	v_pk_add_f32 v[60:61], v[60:61], v[68:69]
	v_pk_add_f32 v[68:69], v[62:63], v[38:39]
	v_pk_mul_f32 v[72:73], v[70:71], s[8:9] op_sel_hi:[1,0]
	v_pk_fma_f32 v[68:69], v[68:69], 0.5, v[66:67] op_sel_hi:[1,0,1] neg_lo:[1,0,0] neg_hi:[1,0,0]
	s_mov_b32 s6, s9
	v_pk_add_f32 v[82:83], v[62:63], v[38:39] neg_lo:[0,1] neg_hi:[0,1]
	v_pk_add_f32 v[78:79], v[68:69], v[72:73] op_sel:[0,1] op_sel_hi:[1,0] neg_lo:[0,1] neg_hi:[0,1]
	v_pk_add_f32 v[68:69], v[68:69], v[72:73] op_sel:[0,1] op_sel_hi:[1,0]
	v_pk_mul_f32 v[72:73], v[82:83], s[6:7] op_sel_hi:[1,0]
	s_mov_b32 s12, 0x3e9e377a
	v_pk_add_f32 v[78:79], v[72:73], v[78:79] op_sel:[1,0] op_sel_hi:[0,1]
	v_pk_add_f32 v[72:73], v[68:69], v[72:73] op_sel:[0,1] op_sel_hi:[1,0] neg_lo:[0,1] neg_hi:[0,1]
	v_pk_fma_f32 v[68:69], v[60:61], s[12:13], v[78:79] op_sel_hi:[1,0,1]
	v_pk_fma_f32 v[72:73], v[60:61], s[12:13], v[72:73] op_sel_hi:[1,0,1]
	v_pk_add_f32 v[60:61], v[76:77], v[42:43]
	v_pk_mul_f32 v[78:79], v[82:83], s[8:9] op_sel_hi:[1,0]
	v_pk_fma_f32 v[60:61], v[60:61], 0.5, v[66:67] op_sel_hi:[1,0,1] neg_lo:[1,0,0] neg_hi:[1,0,0]
	v_pk_add_f32 v[100:101], v[66:67], v[62:63]
	v_pk_add_f32 v[62:63], v[62:63], v[76:77] neg_lo:[0,1] neg_hi:[0,1]
	v_pk_add_f32 v[66:67], v[38:39], v[42:43] neg_lo:[0,1] neg_hi:[0,1]
	v_pk_add_f32 v[82:83], v[60:61], v[78:79] op_sel:[0,1] op_sel_hi:[1,0] neg_lo:[0,1] neg_hi:[0,1]
	v_pk_add_f32 v[60:61], v[78:79], v[60:61] op_sel:[1,0] op_sel_hi:[0,1]
	v_pk_mul_f32 v[70:71], v[70:71], s[6:7] op_sel_hi:[1,0]
	v_pk_add_f32 v[62:63], v[62:63], v[66:67]
	v_pk_add_f32 v[78:79], v[82:83], v[70:71] op_sel:[0,1] op_sel_hi:[1,0] neg_lo:[0,1] neg_hi:[0,1]
	v_pk_add_f32 v[60:61], v[70:71], v[60:61] op_sel:[1,0] op_sel_hi:[0,1]
	v_pk_mul_f32 v[66:67], v[62:63], s[12:13] op_sel_hi:[1,0]
	s_waitcnt vmcnt(2)
	v_pk_add_f32 v[90:91], v[74:75], v[10:11] neg_lo:[0,1] neg_hi:[0,1]
	v_add_f32_e32 v118, v67, v61
	v_mov_b32_e32 v61, v79
	v_pk_fma_f32 v[70:71], v[62:63], s[12:13], v[60:61] op_sel_hi:[1,0,1]
	v_mov_b32_e32 v61, v78
	v_mov_b32_e32 v60, v101
	;; [unrolled: 1-line block ×4, first 2 shown]
	v_pk_add_f32 v[82:83], v[60:61], v[62:63]
	v_pk_add_f32 v[60:61], v[24:25], v[74:75] neg_lo:[0,1] neg_hi:[0,1]
	s_waitcnt vmcnt(0)
	v_pk_add_f32 v[62:63], v[30:31], v[10:11] neg_lo:[0,1] neg_hi:[0,1]
	v_pk_add_f32 v[78:79], v[24:25], v[30:31] neg_lo:[0,1] neg_hi:[0,1]
	v_pk_add_f32 v[62:63], v[62:63], v[60:61]
	v_pk_add_f32 v[60:61], v[74:75], v[10:11]
	v_pk_mul_f32 v[66:67], v[78:79], s[8:9] op_sel_hi:[1,0]
	v_pk_fma_f32 v[60:61], v[60:61], 0.5, v[54:55] op_sel_hi:[1,0,1] neg_lo:[1,0,0] neg_hi:[1,0,0]
	v_pk_mul_f32 v[78:79], v[78:79], s[6:7] op_sel_hi:[1,0]
	v_pk_add_f32 v[88:89], v[60:61], v[66:67] op_sel:[0,1] op_sel_hi:[1,0] neg_lo:[0,1] neg_hi:[0,1]
	v_pk_add_f32 v[60:61], v[60:61], v[66:67] op_sel:[0,1] op_sel_hi:[1,0]
	v_pk_mul_f32 v[66:67], v[90:91], s[6:7] op_sel_hi:[1,0]
	v_pk_add_f32 v[120:121], v[8:9], v[0:1] neg_lo:[0,1] neg_hi:[0,1]
	v_pk_add_f32 v[88:89], v[66:67], v[88:89] op_sel:[1,0] op_sel_hi:[0,1]
	v_pk_add_f32 v[66:67], v[60:61], v[66:67] op_sel:[0,1] op_sel_hi:[1,0] neg_lo:[0,1] neg_hi:[0,1]
	v_pk_fma_f32 v[60:61], v[62:63], s[12:13], v[88:89] op_sel_hi:[1,0,1]
	v_pk_fma_f32 v[66:67], v[62:63], s[12:13], v[66:67] op_sel_hi:[1,0,1]
	v_pk_add_f32 v[62:63], v[30:31], v[24:25]
	v_pk_mul_f32 v[88:89], v[90:91], s[8:9] op_sel_hi:[1,0]
	v_pk_fma_f32 v[62:63], v[62:63], 0.5, v[54:55] op_sel_hi:[1,0,1] neg_lo:[1,0,0] neg_hi:[1,0,0]
	v_mov_b32_e32 v122, v27
	v_pk_add_f32 v[90:91], v[62:63], v[88:89] op_sel:[0,1] op_sel_hi:[1,0] neg_lo:[0,1] neg_hi:[0,1]
	v_pk_add_f32 v[62:63], v[88:89], v[62:63] op_sel:[1,0] op_sel_hi:[0,1]
	v_pk_add_f32 v[102:103], v[90:91], v[78:79] op_sel:[0,1] op_sel_hi:[1,0] neg_lo:[0,1] neg_hi:[0,1]
	v_pk_add_f32 v[62:63], v[78:79], v[62:63] op_sel:[1,0] op_sel_hi:[0,1]
	v_pk_add_f32 v[78:79], v[74:75], v[24:25] neg_lo:[0,1] neg_hi:[0,1]
	v_pk_add_f32 v[88:89], v[10:11], v[30:31] neg_lo:[0,1] neg_hi:[0,1]
	;; [unrolled: 1-line block ×3, first 2 shown]
	v_pk_add_f32 v[78:79], v[88:89], v[78:79]
	v_pk_add_f32 v[88:89], v[0:1], v[8:9] neg_lo:[0,1] neg_hi:[0,1]
	v_pk_mul_f32 v[104:105], v[78:79], s[12:13] op_sel_hi:[1,0]
	v_mov_b32_e32 v123, v26
	v_add_f32_e32 v117, v105, v63
	v_mov_b32_e32 v63, v103
	v_pk_fma_f32 v[62:63], v[78:79], s[12:13], v[62:63] op_sel_hi:[1,0,1]
	v_pk_add_f32 v[78:79], v[20:21], v[44:45] neg_lo:[0,1] neg_hi:[0,1]
	v_pk_add_f32 v[122:123], v[122:123], v[26:27] neg_lo:[0,1] neg_hi:[0,1]
	v_pk_add_f32 v[106:107], v[88:89], v[78:79]
	v_pk_add_f32 v[78:79], v[20:21], v[0:1]
	v_pk_mul_f32 v[88:89], v[90:91], s[6:7] op_sel_hi:[1,0]
	v_pk_fma_f32 v[92:93], v[78:79], 0.5, v[22:23] op_sel_hi:[1,0,1] neg_lo:[1,0,0] neg_hi:[1,0,0]
	v_pk_add_f32 v[78:79], v[20:21], v[0:1] neg_lo:[0,1] neg_hi:[0,1]
	v_pk_mul_f32 v[124:125], v[86:87], s[8:9]
	v_pk_mul_f32 v[94:95], v[78:79], s[8:9] op_sel_hi:[1,0]
	v_sub_f32_e32 v6, v80, v124
	v_pk_add_f32 v[108:109], v[92:93], v[94:95] op_sel:[0,1] op_sel_hi:[1,0] neg_lo:[0,1] neg_hi:[0,1]
	v_sub_f32_e32 v127, v6, v125
	v_pk_add_f32 v[110:111], v[108:109], v[88:89] op_sel:[0,1] op_sel_hi:[1,0] neg_lo:[0,1] neg_hi:[0,1]
	v_pk_add_f32 v[108:109], v[108:109], v[88:89] op_sel:[0,1] op_sel_hi:[1,0]
	v_add_f32_e32 v6, v98, v99
	v_mov_b32_e32 v111, v109
	v_pk_add_f32 v[108:109], v[44:45], v[20:21] neg_lo:[0,1] neg_hi:[0,1]
	v_mul_f32_e32 v6, 0x3e9e377a, v6
	v_pk_add_f32 v[108:109], v[120:121], v[108:109]
	v_mov_b32_e32 v120, v5
	v_mov_b32_e32 v121, v4
	v_pk_add_f32 v[120:121], v[120:121], v[4:5] neg_lo:[0,1] neg_hi:[0,1]
	v_pk_add_f32 v[98:99], v[6:7], v[96:97] op_sel_hi:[0,1]
	v_pk_add_f32 v[120:121], v[120:121], v[122:123]
	v_pk_add_f32 v[122:123], v[52:53], v[46:47] neg_lo:[0,1] neg_hi:[0,1]
	v_mov_b32_e32 v6, v12
	v_mov_b32_e32 v85, v122
	v_pk_add_f32 v[122:123], v[58:59], v[36:37] op_sel_hi:[1,0] neg_lo:[0,1] neg_hi:[0,1]
	v_pk_add_f32 v[96:97], v[4:5], v[26:27]
	v_mov_b32_e32 v122, v36
	v_pk_add_f32 v[122:123], v[84:85], v[122:123]
	v_mov_b32_e32 v85, 0x3e9e377a
	v_mov_b32_e32 v84, v46
	v_pk_add_f32 v[86:87], v[122:123], v[46:47]
	v_pk_mul_f32 v[122:123], v[122:123], v[84:85]
	v_pk_add_f32 v[132:133], v[6:7], v[2:3] neg_lo:[0,1] neg_hi:[0,1]
	v_mov_b32_e32 v87, v123
	v_mov_b32_e32 v126, v52
	v_pk_mul_f32 v[128:129], v[106:107], s[12:13] op_sel_hi:[1,0]
	v_pk_fma_f32 v[106:107], v[96:97], 0.5, v[18:19] op_sel_hi:[1,0,0] neg_lo:[1,0,0] neg_hi:[1,0,0]
	v_pk_mul_f32 v[134:135], v[132:133], s[8:9] op_sel_hi:[1,0]
	v_pk_add_f32 v[126:127], v[86:87], v[126:127]
	v_pk_fma_f32 v[86:87], v[108:109], s[12:13], v[110:111] op_sel_hi:[1,0,1]
	v_pk_mul_f32 v[130:131], v[108:109], s[12:13] op_sel_hi:[1,0]
	v_pk_add_f32 v[96:97], v[106:107], v[134:135] op_sel:[0,1] op_sel_hi:[1,0] neg_lo:[0,1] neg_hi:[0,1]
	v_pk_add_f32 v[108:109], v[106:107], v[134:135] op_sel:[0,1] op_sel_hi:[1,0]
	v_mov_b32_e32 v81, v100
	v_mov_b32_e32 v77, v76
	;; [unrolled: 1-line block ×4, first 2 shown]
	v_pk_add_f32 v[76:77], v[80:81], v[76:77]
	v_mov_b32_e32 v80, v125
	v_mov_b32_e32 v81, v42
	s_mov_b32 s18, 0xbe9e377a
	v_pk_fma_f32 v[108:109], v[132:133], s[6:7], v[108:109] op_sel_hi:[1,0,1] neg_lo:[1,0,0] neg_hi:[1,0,0]
	v_pk_fma_f32 v[96:97], v[132:133], s[6:7], v[96:97] op_sel_hi:[1,0,1]
	v_mov_b32_e32 v136, v69
	v_mov_b32_e32 v137, v73
	v_pk_add_f32 v[76:77], v[76:77], v[80:81]
	v_mov_b32_e32 v80, v123
	v_mov_b32_e32 v81, v38
	v_mul_u32_u24_e32 v19, 0x1e0, v49
	s_mov_b32 s19, 0xbf4f1bbd
	v_pk_fma_f32 v[110:111], v[120:121], s[12:13], v[108:109] op_sel_hi:[1,0,1]
	v_pk_fma_f32 v[108:109], v[120:121], s[12:13], v[96:97] op_sel_hi:[1,0,1]
	v_pk_mul_f32 v[120:121], v[120:121], s[12:13] op_sel_hi:[1,0]
	v_mov_b32_e32 v96, v72
	v_mov_b32_e32 v97, v68
	s_mov_b32 s13, s18
	v_pk_mul_f32 v[136:137], v[136:137], s[8:9] op_sel_hi:[1,0]
	v_pk_add_f32 v[76:77], v[80:81], v[76:77]
	s_mov_b32 s14, 0x3f4f1bbd
	v_lshlrev_b32_e32 v64, 2, v19
	v_mul_f32_e32 v19, 0x3f167918, v118
	v_pk_fma_f32 v[136:137], v[96:97], s[12:13], v[136:137] neg_lo:[0,0,1] neg_hi:[0,0,1]
	v_fma_f32 v81, v83, s14, -v19
	v_mov_b32_e32 v80, v77
	v_add_u32_e32 v57, 0, v64
	v_mad_u32_u24 v38, v112, 40, v57
	v_pk_add_f32 v[96:97], v[98:99], v[136:137]
	v_pk_add_f32 v[100:101], v[126:127], v[80:81]
	v_mul_f32_e32 v19, 0x3f167918, v71
	ds_write2_b64 v38, v[100:101], v[96:97] offset1:1
	v_mov_b32_e32 v80, v81
	v_mov_b32_e32 v81, v136
	;; [unrolled: 1-line block ×5, first 2 shown]
	v_fma_f32 v122, v70, s19, -v19
	v_pk_add_f32 v[80:81], v[96:97], v[80:81] neg_lo:[0,1] neg_hi:[0,1]
	v_pk_add_f32 v[96:97], v[122:123], v[76:77]
	v_pk_add_f32 v[100:101], v[122:123], v[76:77] neg_lo:[0,1] neg_hi:[0,1]
	v_mov_b32_e32 v49, v29
	v_mov_b32_e32 v97, v101
	ds_write2_b64 v38, v[96:97], v[80:81] offset0:2 offset1:3
	v_mov_b32_e32 v96, v35
	v_mov_b32_e32 v97, v33
	v_add_f32_e32 v19, v41, v34
	v_pk_add_f32 v[100:101], v[28:29], v[32:33]
	v_pk_add_f32 v[124:125], v[48:49], v[96:97] neg_lo:[0,1] neg_hi:[0,1]
	v_add_f32_e32 v80, v50, v41
	v_fma_f32 v98, -0.5, v100, v50
	v_fmac_f32_e32 v50, -0.5, v19
	v_pk_mul_f32 v[96:97], v[124:125], s[0:1]
	v_mov_b32_e32 v126, v41
	v_add_f32_e32 v19, v97, v50
	v_sub_f32_e32 v42, v50, v97
	v_sub_f32_e32 v50, v19, v96
	v_add_f32_e32 v51, v96, v42
	v_mov_b32_e32 v96, v28
	v_mov_b32_e32 v97, v32
	;; [unrolled: 1-line block ×3, first 2 shown]
	v_pk_add_f32 v[54:55], v[54:55], v[74:75]
	v_pk_add_f32 v[126:127], v[96:97], v[126:127] neg_lo:[0,1] neg_hi:[0,1]
	v_mov_b32_e32 v75, v102
	v_mov_b32_e32 v74, v55
	;; [unrolled: 1-line block ×4, first 2 shown]
	v_pk_add_f32 v[96:97], v[74:75], v[96:97]
	v_mov_b32_e32 v74, v99
	v_mov_b32_e32 v75, v76
	;; [unrolled: 1-line block ×4, first 2 shown]
	v_pk_add_f32 v[74:75], v[74:75], v[76:77] neg_lo:[0,1] neg_hi:[0,1]
	ds_write_b64 v38, v[74:75] offset:32
	v_pk_add_f32 v[74:75], v[34:35], v[32:33] neg_lo:[0,1] neg_hi:[0,1]
	v_pk_mul_f32 v[76:77], v[124:125], s[8:9]
	v_mov_b32_e32 v81, v74
	v_pk_add_f32 v[74:75], v[40:41], v[28:29] op_sel_hi:[1,0] neg_lo:[0,1] neg_hi:[0,1]
	v_mov_b32_e32 v84, v32
	v_mov_b32_e32 v74, v28
	v_pk_add_f32 v[74:75], v[80:81], v[74:75]
	v_mov_b32_e32 v99, v54
	v_mov_b32_e32 v25, v24
	;; [unrolled: 1-line block ×3, first 2 shown]
	v_pk_add_f32 v[80:81], v[74:75], v[32:33]
	v_pk_mul_f32 v[74:75], v[74:75], v[84:85]
	v_sub_f32_e32 v19, v98, v76
	v_pk_add_f32 v[24:25], v[98:99], v[24:25]
	v_mov_b32_e32 v54, v77
	v_mov_b32_e32 v55, v30
	;; [unrolled: 1-line block ×3, first 2 shown]
	v_sub_f32_e32 v103, v19, v77
	v_mov_b32_e32 v102, v34
	v_add_f32_e32 v19, v126, v127
	v_mov_b32_e32 v104, v61
	v_mov_b32_e32 v105, v67
	v_pk_add_f32 v[24:25], v[54:55], v[24:25]
	v_mov_b32_e32 v54, v75
	v_mov_b32_e32 v55, v10
	v_pk_add_f32 v[80:81], v[80:81], v[102:103]
	v_mul_f32_e32 v42, 0x3e9e377a, v19
	v_mov_b32_e32 v102, v66
	v_mov_b32_e32 v103, v60
	v_pk_mul_f32 v[104:105], v[104:105], s[8:9] op_sel_hi:[1,0]
	v_pk_add_f32 v[24:25], v[54:55], v[24:25]
	v_mul_f32_e32 v10, 0x3f167918, v117
	v_pk_add_f32 v[50:51], v[42:43], v[50:51] op_sel_hi:[0,1]
	v_pk_fma_f32 v[122:123], v[102:103], s[12:13], v[104:105] neg_lo:[0,0,1] neg_hi:[0,0,1]
	v_fma_f32 v55, v97, s14, -v10
	v_mov_b32_e32 v54, v25
	v_mad_i32_i24 v10, v114, 40, v57
	v_pk_add_f32 v[74:75], v[50:51], v[122:123]
	v_pk_add_f32 v[76:77], v[80:81], v[54:55]
	ds_write2_b64 v10, v[76:77], v[74:75] offset1:1
	v_mov_b32_e32 v54, v55
	v_mov_b32_e32 v55, v122
	;; [unrolled: 1-line block ×4, first 2 shown]
	v_mul_f32_e32 v19, 0x3f167918, v63
	v_pk_add_f32 v[54:55], v[74:75], v[54:55] neg_lo:[0,1] neg_hi:[0,1]
	v_mov_b32_e32 v75, v80
	v_fma_f32 v74, v62, s19, -v19
	v_pk_add_f32 v[76:77], v[74:75], v[24:25]
	v_pk_add_f32 v[80:81], v[74:75], v[24:25] neg_lo:[0,1] neg_hi:[0,1]
	s_mov_b32 s15, s12
	v_mov_b32_e32 v77, v81
	ds_write2_b64 v10, v[76:77], v[54:55] offset0:2 offset1:3
	v_mov_b32_e32 v54, v45
	v_mov_b32_e32 v55, v8
	;; [unrolled: 1-line block ×4, first 2 shown]
	v_pk_add_f32 v[54:55], v[54:55], v[76:77]
	v_mov_b32_e32 v80, v23
	v_mov_b32_e32 v81, v22
	v_pk_fma_f32 v[54:55], v[54:55], 0.5, v[80:81] op_sel_hi:[1,0,1] neg_lo:[1,0,0] neg_hi:[1,0,0]
	v_pk_add_f32 v[76:77], v[92:93], v[94:95] op_sel:[0,1] op_sel_hi:[1,0]
	v_pk_fma_f32 v[80:81], v[90:91], s[8:9], v[54:55] op_sel_hi:[1,0,1] neg_lo:[1,0,0] neg_hi:[1,0,0]
	v_pk_fma_f32 v[54:55], v[90:91], s[8:9], v[54:55] op_sel_hi:[1,0,1]
	v_add_f32_e32 v107, v18, v5
	v_pk_fma_f32 v[90:91], v[78:79], s[6:7], v[54:55] op_sel_hi:[1,0,1]
	v_pk_fma_f32 v[54:55], v[78:79], s[6:7], v[54:55] op_sel_hi:[1,0,1] neg_lo:[1,0,0] neg_hi:[1,0,0]
	v_mov_b32_e32 v18, v135
	v_mov_b32_e32 v91, v55
	v_pk_add_f32 v[54:55], v[22:23], v[44:45]
	v_mov_b32_e32 v22, v89
	v_pk_add_f32 v[54:55], v[20:21], v[54:55]
	v_mov_b32_e32 v20, v76
	v_pk_add_f32 v[102:103], v[128:129], v[90:91] op_sel:[1,0] op_sel_hi:[0,1]
	v_pk_add_f32 v[20:21], v[22:23], v[20:21]
	v_mov_b32_e32 v44, v130
	v_mov_b32_e32 v22, v102
	;; [unrolled: 1-line block ×3, first 2 shown]
	v_pk_add_f32 v[98:99], v[44:45], v[20:21]
	v_mov_b32_e32 v20, v86
	v_mov_b32_e32 v21, v103
	v_pk_mul_f32 v[22:23], v[22:23], s[0:1]
	v_mov_b32_e32 v19, v4
	v_pk_fma_f32 v[20:21], v[20:21], s[14:15], v[22:23] neg_lo:[0,0,1] neg_hi:[0,0,1]
	v_pk_mul_f32 v[22:23], v[132:133], s[6:7] op_sel_hi:[1,0]
	v_pk_add_f32 v[18:19], v[106:107], v[18:19]
	v_mov_b32_e32 v23, v26
	v_pk_add_f32 v[18:19], v[18:19], v[22:23]
	v_mov_b32_e32 v22, v77
	v_pk_mul_f32 v[76:77], v[78:79], s[6:7] op_sel_hi:[1,0]
	v_mov_b32_e32 v23, v80
	v_pk_fma_f32 v[44:45], v[78:79], s[6:7], v[80:81] op_sel_hi:[1,0,1]
	v_mov_b32_e32 v89, v76
	v_pk_add_f32 v[22:23], v[22:23], v[88:89] neg_lo:[0,1] neg_hi:[0,1]
	v_pk_add_f32 v[106:107], v[128:129], v[44:45] op_sel:[1,0] op_sel_hi:[0,1]
	v_mov_b32_e32 v128, v131
	v_pk_add_f32 v[104:105], v[128:129], v[22:23]
	v_mov_b32_e32 v22, v107
	v_mov_b32_e32 v23, v98
	v_pk_mul_f32 v[44:45], v[104:105], s[8:9]
	v_mov_b32_e32 v25, v74
	v_pk_fma_f32 v[22:23], v[22:23], s[18:19], v[44:45] neg_lo:[0,0,1] neg_hi:[0,0,1]
	v_mov_b32_e32 v44, v51
	v_mov_b32_e32 v45, v24
	;; [unrolled: 1-line block ×3, first 2 shown]
	v_pk_add_f32 v[24:25], v[44:45], v[24:25] neg_lo:[0,1] neg_hi:[0,1]
	v_mov_b32_e32 v121, v27
	ds_write_b64 v10, v[24:25] offset:32
	v_pk_add_f32 v[24:25], v[0:1], v[54:55]
	v_pk_add_f32 v[18:19], v[18:19], v[120:121]
	;; [unrolled: 1-line block ×3, first 2 shown]
	v_mov_b32_e32 v44, v19
	v_mov_b32_e32 v45, v110
	;; [unrolled: 1-line block ×6, first 2 shown]
	v_pk_add_f32 v[44:45], v[44:45], v[24:25]
	v_pk_add_f32 v[50:51], v[108:109], v[50:51]
	v_mad_i32_i24 v30, v115, 40, v57
	v_mov_b32_e32 v25, v24
	v_mov_b32_e32 v24, v23
	ds_write2_b64 v30, v[44:45], v[50:51] offset1:1
	v_pk_add_f32 v[44:45], v[110:111], v[20:21] neg_lo:[0,1] neg_hi:[0,1]
	v_pk_add_f32 v[20:21], v[18:19], v[24:25]
	v_pk_add_f32 v[50:51], v[18:19], v[24:25] neg_lo:[0,1] neg_hi:[0,1]
	v_mov_b32_e32 v24, v109
	v_mov_b32_e32 v25, v18
	;; [unrolled: 1-line block ×3, first 2 shown]
	v_pk_add_f32 v[18:19], v[24:25], v[22:23] neg_lo:[0,1] neg_hi:[0,1]
	s_load_dwordx2 s[6:7], s[2:3], 0x0
	ds_write2_b64 v30, v[20:21], v[44:45] offset0:2 offset1:3
	ds_write_b64 v30, v[18:19] offset:32
	v_lshlrev_b32_e32 v21, 2, v112
	v_add_u32_e32 v84, v57, v21
	v_add3_u32 v21, 0, v21, v64
	v_lshl_add_u32 v106, v115, 2, v57
	s_waitcnt lgkmcnt(0)
	; wave barrier
	s_waitcnt lgkmcnt(0)
	v_lshl_add_u32 v100, v114, 2, v57
	ds_read_b32 v110, v84
	v_add_u32_e32 v119, 0x400, v21
	ds_read_b32 v50, v106
	ds_read_b32 v109, v100
	ds_read_b32 v116, v21 offset:1808
	ds_read2_b32 v[94:95], v21 offset0:60 offset1:76
	ds_read2_b32 v[78:79], v21 offset0:92 offset1:120
	ds_read2_b32 v[92:93], v21 offset0:180 offset1:196
	ds_read2_b32 v[22:23], v21 offset0:212 offset1:240
	ds_read2_b32 v[90:91], v119 offset0:44 offset1:60
	ds_read2_b32 v[74:75], v119 offset0:76 offset1:104
	ds_read2_b32 v[88:89], v119 offset0:164 offset1:180
	ds_read2_b32 v[80:81], v21 offset0:136 offset1:152
	ds_read2_b32 v[24:25], v119 offset1:16
	ds_read2_b32 v[76:77], v119 offset0:120 offset1:136
	v_cmp_gt_u32_e64 s[0:1], 12, v112
	v_lshlrev_b32_e32 v108, 2, v113
                                        ; implicit-def: $vgpr111
                                        ; implicit-def: $vgpr55
	s_and_saveexec_b64 s[2:3], s[0:1]
	s_cbranch_execz .LBB0_15
; %bb.14:
	ds_read2_b32 v[18:19], v21 offset0:108 offset1:168
	v_add3_u32 v20, 0, v108, v64
	v_add_u32_e32 v42, 0x200, v21
	ds_read2_b32 v[120:121], v42 offset0:100 offset1:160
	ds_read2_b32 v[54:55], v119 offset0:92 offset1:152
	ds_read_b32 v20, v20
	ds_read_b32 v111, v21 offset:1872
	s_waitcnt lgkmcnt(3)
	v_mov_b32_e32 v45, v120
	v_mov_b32_e32 v51, v18
	;; [unrolled: 1-line block ×4, first 2 shown]
	s_waitcnt lgkmcnt(2)
	v_mov_b32_e32 v19, v54
.LBB0_15:
	s_or_b64 exec, exec, s[2:3]
	v_pk_add_f32 v[120:121], v[36:37], v[46:47] neg_lo:[0,1] neg_hi:[0,1]
	v_mov_b32_e32 v57, v53
	v_mov_b32_e32 v46, v37
	v_pk_add_f32 v[122:123], v[56:57], v[46:47] neg_lo:[0,1] neg_hi:[0,1]
	v_mul_f32_e32 v49, 0.5, v65
	v_mov_b32_e32 v36, v123
	v_pk_add_f32 v[122:123], v[122:123], v[36:37]
	v_add_f32_e32 v36, v56, v53
	v_mul_f32_e32 v42, 0.5, v36
	v_mov_b32_e32 v54, v43
	v_mov_b32_e32 v43, v52
	v_pk_add_f32 v[126:127], v[46:47], v[56:57] neg_lo:[0,1] neg_hi:[0,1]
	v_mov_b32_e32 v57, v49
	v_pk_add_f32 v[42:43], v[58:59], v[42:43] neg_lo:[0,1] neg_hi:[0,1]
	v_mov_b32_e32 v123, v120
	v_mul_f32_e32 v124, 0x3f737871, v120
	v_add_f32_e32 v36, v126, v127
	v_pk_add_f32 v[126:127], v[58:59], v[56:57]
	v_pk_add_f32 v[56:57], v[58:59], v[56:57] op_sel_hi:[0,1] neg_lo:[0,1] neg_hi:[0,1]
	v_fmamk_f32 v59, v120, 0xbf737871, v42
	v_mov_b32_e32 v125, 0x3f167918
	v_pk_mul_f32 v[120:121], v[42:43], s[8:9]
	v_pk_add_f32 v[130:131], v[42:43], v[124:125]
	v_mov_b32_e32 v58, v121
	s_mov_b32 s13, s9
	v_pk_fma_f32 v[120:121], v[42:43], v[124:125], v[58:59]
	v_pk_add_f32 v[58:59], v[130:131], v[58:59] neg_lo:[0,1] neg_hi:[0,1]
	v_pk_mul_f32 v[122:123], v[122:123], s[12:13]
	v_mul_f32_e32 v36, 0x3e9e377a, v36
	v_mov_b32_e32 v127, v57
	v_mov_b32_e32 v128, v53
	v_mul_f32_e32 v53, 0x3f737871, v43
	v_mov_b32_e32 v59, v121
	v_mov_b32_e32 v52, v37
	;; [unrolled: 1-line block ×4, first 2 shown]
	v_pk_add_f32 v[58:59], v[36:37], v[58:59] op_sel_hi:[0,1]
	v_pk_add_f32 v[36:37], v[126:127], v[52:53]
	s_mov_b32 s2, s8
	s_mov_b32 s3, s12
	v_pk_add_f32 v[36:37], v[36:37], v[46:47]
	v_pk_mul_f32 v[46:47], v[72:73], s[2:3]
	v_pk_add_f32 v[72:73], v[82:83], v[54:55]
	v_pk_mul_f32 v[82:83], v[82:83], s[8:9]
	s_mov_b32 s18, s9
	s_mov_b32 s19, s14
	v_mov_b32_e32 v129, v122
	v_fmac_f32_e32 v57, 0xbf737871, v43
	v_pk_fma_f32 v[52:53], v[68:69], s[2:3], v[46:47] op_sel:[0,0,1] op_sel_hi:[1,1,0]
	v_pk_fma_f32 v[46:47], v[68:69], s[2:3], v[46:47] op_sel:[0,0,1] op_sel_hi:[1,1,0] neg_lo:[0,0,1] neg_hi:[0,0,1]
	v_mul_f32_e32 v69, 0x3f4f1bbd, v118
	v_mov_b32_e32 v73, v83
	v_mov_b32_e32 v68, v39
	v_pk_mul_f32 v[82:83], v[70:71], s[18:19]
	v_pk_add_f32 v[36:37], v[36:37], v[128:129]
	v_sub_f32_e32 v42, v57, v123
	v_pk_add_f32 v[68:69], v[68:69], v[72:73]
	v_mov_b32_e32 v52, v83
	v_add_f32_e32 v42, v122, v42
	v_mov_b32_e32 v47, v53
	v_pk_add_f32 v[72:73], v[36:37], v[68:69]
	v_pk_fma_f32 v[70:71], v[70:71], s[18:19], v[52:53] neg_lo:[0,0,1] neg_hi:[0,0,1]
	v_pk_add_f32 v[120:121], v[36:37], v[68:69] neg_lo:[0,1] neg_hi:[0,1]
	v_mov_b32_e32 v36, v37
	v_mov_b32_e32 v37, v59
	;; [unrolled: 1-line block ×3, first 2 shown]
	v_pk_add_f32 v[56:57], v[58:59], v[46:47]
	v_pk_add_f32 v[52:53], v[36:37], v[52:53] neg_lo:[0,1] neg_hi:[0,1]
	v_mov_b32_e32 v59, v42
	v_mov_b32_e32 v47, v70
	v_pk_add_f32 v[36:37], v[28:29], v[32:33] neg_lo:[0,1] neg_hi:[0,1]
	v_mov_b32_e32 v49, v35
	v_mov_b32_e32 v32, v29
	v_pk_add_f32 v[82:83], v[42:43], v[70:71]
	v_pk_add_f32 v[42:43], v[58:59], v[46:47] neg_lo:[0,1] neg_hi:[0,1]
	v_pk_add_f32 v[46:47], v[48:49], v[32:33] neg_lo:[0,1] neg_hi:[0,1]
	v_mov_b32_e32 v59, v34
	v_mov_b32_e32 v28, v47
	v_pk_add_f32 v[46:47], v[46:47], v[28:29]
	v_add_f32_e32 v28, v48, v35
	v_mul_f32_e32 v58, 0.5, v28
	v_mul_f32_e32 v39, 0.5, v101
	v_mov_b32_e32 v70, v35
	v_pk_add_f32 v[34:35], v[40:41], v[58:59] neg_lo:[0,1] neg_hi:[0,1]
	v_mul_f32_e32 v124, 0x3f737871, v36
	v_pk_add_f32 v[68:69], v[32:33], v[48:49] neg_lo:[0,1] neg_hi:[0,1]
	v_mov_b32_e32 v49, v39
	v_pk_mul_f32 v[58:59], v[34:35], s[8:9]
	v_mov_b32_e32 v47, v36
	v_add_f32_e32 v28, v68, v69
	v_pk_add_f32 v[68:69], v[40:41], v[48:49]
	v_pk_add_f32 v[48:49], v[40:41], v[48:49] op_sel_hi:[0,1] neg_lo:[0,1] neg_hi:[0,1]
	v_fmamk_f32 v41, v36, 0xbf737871, v34
	v_pk_add_f32 v[122:123], v[34:35], v[124:125]
	v_mov_b32_e32 v40, v59
	v_pk_mul_f32 v[46:47], v[46:47], s[12:13]
	v_mov_b32_e32 v69, v49
	v_pk_fma_f32 v[58:59], v[34:35], v[124:125], v[40:41]
	v_pk_add_f32 v[40:41], v[122:123], v[40:41] neg_lo:[0,1] neg_hi:[0,1]
	v_fmac_f32_e32 v49, 0xbf737871, v35
	v_mul_f32_e32 v28, 0x3e9e377a, v28
	v_mov_b32_e32 v48, v31
	v_mul_f32_e32 v37, 0x3f737871, v35
	v_mov_b32_e32 v41, v59
	v_mov_b32_e32 v36, v29
	v_sub_f32_e32 v31, v49, v47
	v_pk_mul_f32 v[34:35], v[66:67], s[2:3]
	v_mul_f32_e32 v49, 0x3f4f1bbd, v117
	v_pk_add_f32 v[40:41], v[28:29], v[40:41] op_sel_hi:[0,1]
	v_pk_add_f32 v[28:29], v[68:69], v[36:37]
	v_pk_fma_f32 v[36:37], v[60:61], s[2:3], v[34:35] op_sel:[0,0,1] op_sel_hi:[1,1,0]
	v_pk_fma_f32 v[34:35], v[60:61], s[2:3], v[34:35] op_sel:[0,0,1] op_sel_hi:[1,1,0] neg_lo:[0,0,1] neg_hi:[0,0,1]
	v_pk_add_f32 v[58:59], v[48:49], v[96:97]
	v_pk_mul_f32 v[60:61], v[96:97], s[8:9]
	v_mov_b32_e32 v32, v33
	v_mov_b32_e32 v33, v47
	;; [unrolled: 1-line block ×3, first 2 shown]
	v_pk_mul_f32 v[60:61], v[62:63], s[18:19]
	v_mov_b32_e32 v71, v46
	v_pk_add_f32 v[28:29], v[28:29], v[32:33]
	v_mov_b32_e32 v48, v11
	v_mov_b32_e32 v36, v61
	v_pk_add_f32 v[28:29], v[28:29], v[70:71]
	v_add_f32_e32 v32, v46, v31
	v_mov_b32_e32 v35, v37
	v_pk_add_f32 v[48:49], v[48:49], v[58:59]
	v_pk_fma_f32 v[60:61], v[62:63], s[18:19], v[36:37] neg_lo:[0,0,1] neg_hi:[0,0,1]
	v_pk_add_f32 v[46:47], v[40:41], v[34:35]
	v_pk_add_f32 v[58:59], v[28:29], v[48:49]
	v_pk_add_f32 v[66:67], v[28:29], v[48:49] neg_lo:[0,1] neg_hi:[0,1]
	v_mov_b32_e32 v28, v29
	v_mov_b32_e32 v29, v41
	v_mov_b32_e32 v36, v49
	v_mov_b32_e32 v41, v32
	v_mov_b32_e32 v35, v60
	v_pk_add_f32 v[62:63], v[32:33], v[60:61]
	v_pk_add_f32 v[48:49], v[28:29], v[36:37] neg_lo:[0,1] neg_hi:[0,1]
	v_pk_add_f32 v[32:33], v[40:41], v[34:35] neg_lo:[0,1] neg_hi:[0,1]
	v_mov_b32_e32 v28, v7
	v_mov_b32_e32 v34, v7
	v_pk_add_f32 v[28:29], v[28:29], v[12:13] neg_lo:[0,1] neg_hi:[0,1]
	v_pk_add_f32 v[34:35], v[34:35], v[12:13] op_sel_hi:[0,1]
	v_pk_add_f32 v[4:5], v[4:5], v[26:27] neg_lo:[0,1] neg_hi:[0,1]
	v_mov_b32_e32 v26, v3
	v_mov_b32_e32 v29, v35
	v_pk_add_f32 v[34:35], v[26:27], v[2:3] neg_lo:[0,1] neg_hi:[0,1]
	v_sub_f32_e32 v36, v12, v7
	v_mov_b32_e32 v35, v12
	v_pk_add_f32 v[28:29], v[28:29], v[34:35]
	v_mov_b32_e32 v11, v2
	v_pk_add_f32 v[6:7], v[6:7], v[2:3]
	v_pk_add_f32 v[26:27], v[2:3], v[26:27] neg_lo:[0,1] neg_hi:[0,1]
	v_pk_mul_f32 v[34:35], v[28:29], s[12:13]
	v_pk_add_f32 v[28:29], v[28:29], v[10:11]
	v_pk_fma_f32 v[6:7], -0.5, v[6:7], v[12:13] op_sel:[0,0,1] op_sel_hi:[0,1,1]
	v_pk_mul_f32 v[12:13], v[4:5], s[8:9] op_sel_hi:[1,0]
	s_mov_b32 s2, s9
	v_mov_b32_e32 v35, v29
	v_mov_b32_e32 v37, v12
	v_pk_add_f32 v[28:29], v[6:7], v[12:13] op_sel:[0,1] op_sel_hi:[1,0] neg_lo:[0,1] neg_hi:[0,1]
	v_pk_mul_f32 v[40:41], v[4:5], s[2:3] op_sel_hi:[1,0]
	v_pk_add_f32 v[12:13], v[6:7], v[12:13] op_sel:[0,1] op_sel_hi:[1,0]
	v_mov_b32_e32 v27, v7
	v_mov_b32_e32 v13, v29
	v_pk_add_f32 v[6:7], v[36:37], v[26:27]
	v_mov_b32_e32 v40, v85
	s_mov_b32 s15, s8
	v_pk_fma_f32 v[60:61], v[4:5], s[2:3], v[28:29] op_sel_hi:[1,0,1] neg_lo:[1,0,0] neg_hi:[1,0,0]
	v_pk_fma_f32 v[4:5], v[4:5], s[2:3], v[12:13] op_sel_hi:[1,0,1]
	v_pk_mul_f32 v[12:13], v[6:7], v[40:41]
	v_pk_mul_f32 v[26:27], v[102:103], s[14:15]
	v_pk_add_f32 v[6:7], v[6:7], v[40:41] neg_lo:[0,1] neg_hi:[0,1]
	v_pk_fma_f32 v[28:29], v[86:87], s[2:3], v[26:27]
	v_mov_b32_e32 v26, v34
	v_mov_b32_e32 v27, v12
	;; [unrolled: 1-line block ×3, first 2 shown]
	v_pk_add_f32 v[4:5], v[26:27], v[4:5]
	v_mov_b32_e32 v26, v125
	v_mov_b32_e32 v27, v9
	v_pk_add_f32 v[6:7], v[12:13], v[2:3]
	v_mov_b32_e32 v61, v3
	v_pk_mul_f32 v[26:27], v[26:27], v[98:99]
	v_pk_add_f32 v[8:9], v[8:9], v[98:99]
	v_mul_f32_e32 v36, 0x3f4f1bbd, v105
	v_mov_b32_e32 v37, v1
	v_pk_add_f32 v[2:3], v[34:35], v[60:61]
	v_mul_f32_e32 v7, 0x3e9e377a, v104
	v_pk_add_f32 v[60:61], v[26:27], v[36:37] neg_lo:[0,1] neg_hi:[0,1]
	v_pk_add_f32 v[0:1], v[8:9], v[0:1]
	v_fma_f32 v41, v107, s8, -v7
	v_mov_b32_e32 v61, v1
	v_mov_b32_e32 v34, v3
	v_mov_b32_e32 v35, v4
	v_mov_b32_e32 v0, v1
	v_mov_b32_e32 v1, v28
	v_pk_add_f32 v[26:27], v[2:3], v[60:61]
	v_pk_add_f32 v[36:37], v[2:3], v[60:61] neg_lo:[0,1] neg_hi:[0,1]
	v_mov_b32_e32 v7, v2
	v_mov_b32_e32 v2, v41
	;; [unrolled: 1-line block ×6, first 2 shown]
	v_pk_add_f32 v[0:1], v[34:35], v[0:1]
	v_pk_add_f32 v[34:35], v[4:5], v[28:29] neg_lo:[0,1] neg_hi:[0,1]
	v_pk_add_f32 v[28:29], v[6:7], v[2:3] neg_lo:[0,1] neg_hi:[0,1]
	v_mov_b32_e32 v2, v57
	v_mov_b32_e32 v3, v56
	v_pk_add_f32 v[12:13], v[12:13], v[40:41]
	s_waitcnt lgkmcnt(0)
	; wave barrier
	s_waitcnt lgkmcnt(0)
	ds_write2_b64 v38, v[72:73], v[2:3] offset1:1
	v_mov_b32_e32 v83, v120
	v_mov_b32_e32 v2, v47
	;; [unrolled: 1-line block ×5, first 2 shown]
	ds_write2_b64 v38, v[82:83], v[52:53] offset0:2 offset1:3
	ds_write_b64 v38, v[42:43] offset:32
	ds_write2_b64 v10, v[58:59], v[2:3] offset1:1
	ds_write2_b64 v10, v[62:63], v[48:49] offset0:2 offset1:3
	ds_write_b64 v10, v[32:33] offset:32
	ds_write2_b64 v30, v[0:1], v[12:13] offset1:1
	ds_write2_b64 v30, v[26:27], v[34:35] offset0:2 offset1:3
	ds_write_b64 v30, v[28:29] offset:32
	s_waitcnt lgkmcnt(0)
	; wave barrier
	s_waitcnt lgkmcnt(0)
	ds_read_b32 v54, v84
	ds_read2_b32 v[52:53], v21 offset0:60 offset1:76
	ds_read2_b32 v[42:43], v21 offset0:92 offset1:120
	;; [unrolled: 1-line block ×8, first 2 shown]
	ds_read2_b32 v[32:33], v119 offset1:16
	ds_read2_b32 v[40:41], v119 offset0:120 offset1:136
	ds_read_b32 v27, v106
	ds_read_b32 v36, v100
	ds_read_b32 v69, v21 offset:1808
                                        ; implicit-def: $vgpr39
                                        ; implicit-def: $vgpr57
	s_and_saveexec_b64 s[2:3], s[0:1]
	s_cbranch_execz .LBB0_17
; %bb.16:
	v_add_u32_e32 v2, 0x200, v21
	ds_read2_b32 v[0:1], v21 offset0:108 offset1:168
	ds_read2_b32 v[2:3], v2 offset0:100 offset1:160
	v_add_u32_e32 v5, 0x400, v21
	v_add3_u32 v4, 0, v108, v64
	ds_read2_b32 v[38:39], v5 offset0:92 offset1:152
	ds_read_b32 v26, v4
	ds_read_b32 v57, v21 offset:1872
	s_waitcnt lgkmcnt(4)
	v_mov_b32_e32 v37, v0
	v_mov_b32_e32 v34, v1
	s_waitcnt lgkmcnt(3)
	v_mov_b32_e32 v35, v2
	v_mov_b32_e32 v28, v3
	s_waitcnt lgkmcnt(2)
	v_mov_b32_e32 v29, v38
.LBB0_17:
	s_or_b64 exec, exec, s[2:3]
	v_add_u32_e32 v0, -10, v112
	v_cmp_gt_u32_e64 s[2:3], 10, v112
	v_mov_b32_e32 v1, 0
	s_nop 0
	v_cndmask_b32_e64 v56, v0, v112, s[2:3]
	v_mul_i32_i24_e32 v0, 7, v56
	v_lshl_add_u64 v[58:59], v[0:1], 3, s[4:5]
	global_load_dwordx2 v[70:71], v[58:59], off offset:48
	global_load_dwordx4 v[4:7], v[58:59], off offset:32
	global_load_dwordx4 v[0:3], v[58:59], off offset:16
	global_load_dwordx4 v[60:63], v[58:59], off
	s_movk_i32 s2, 0xcd
	s_waitcnt vmcnt(3) lgkmcnt(6)
	v_mul_f32_e32 v65, v10, v71
	s_waitcnt vmcnt(2)
	v_mul_f32_e32 v67, v9, v7
	s_waitcnt vmcnt(1)
	;; [unrolled: 2-line block ×3, first 2 shown]
	v_mul_f32_e32 v58, v52, v61
	v_mul_f32_e32 v38, v94, v61
	v_mul_f32_e32 v1, v92, v1
	v_fmac_f32_e32 v58, v94, v60
	v_fma_f32 v52, v52, v60, -v38
	v_mul_f32_e32 v60, v43, v63
	v_mul_f32_e32 v38, v79, v63
	v_fmac_f32_e32 v59, v92, v0
	v_fma_f32 v48, v48, v0, -v1
	v_mul_f32_e32 v0, v90, v5
	v_fmac_f32_e32 v60, v79, v62
	v_fma_f32 v38, v43, v62, -v38
	v_fma_f32 v62, v12, v4, -v0
	v_mul_f32_e32 v0, v75, v7
	v_fma_f32 v68, v9, v6, -v0
	v_mul_f32_e32 v0, v88, v71
	v_fma_f32 v66, v10, v70, -v0
	v_mul_lo_u16_sdwa v0, v114, s2 dst_sel:DWORD dst_unused:UNUSED_PAD src0_sel:BYTE_0 src1_sel:DWORD
	v_lshrrev_b16_e32 v1, 11, v0
	v_mul_lo_u16_e32 v0, 10, v1
	v_mul_f32_e32 v61, v12, v5
	v_sub_u16_e32 v43, v114, v0
	v_fmac_f32_e32 v61, v90, v4
	v_mul_lo_u16_e32 v0, 7, v43
	v_mov_b32_e32 v4, 3
	v_lshlrev_b32_sdwa v0, v4, v0 dst_sel:DWORD dst_unused:UNUSED_PAD src0_sel:DWORD src1_sel:BYTE_0
	v_fmac_f32_e32 v67, v75, v6
	v_fmac_f32_e32 v65, v88, v70
	global_load_dwordx2 v[82:83], v0, s[4:5] offset:48
	global_load_dwordx4 v[70:73], v0, s[4:5] offset:32
	global_load_dwordx4 v[4:7], v0, s[4:5] offset:16
	global_load_dwordx4 v[96:99], v0, s[4:5]
	v_mov_b32_e32 v9, 7
	v_mul_f32_e32 v63, v31, v3
	v_fmac_f32_e32 v63, v23, v2
	v_mul_lo_u16_e32 v1, 0x50, v1
	v_or_b32_e32 v1, v1, v43
	v_mov_b32_e32 v43, 2
	v_lshlrev_b32_sdwa v1, v43, v1 dst_sel:DWORD dst_unused:UNUSED_PAD src0_sel:DWORD src1_sel:BYTE_0
	v_add3_u32 v43, 0, v1, v64
	s_waitcnt vmcnt(2)
	v_mul_f32_e32 v92, v13, v71
	v_fmac_f32_e32 v92, v91, v70
	s_waitcnt vmcnt(0)
	v_mul_f32_e32 v0, v95, v97
	s_waitcnt lgkmcnt(5)
	v_mul_f32_e32 v85, v46, v99
	v_mul_f32_e32 v79, v53, v97
	v_fma_f32 v53, v53, v96, -v0
	v_fmac_f32_e32 v85, v80, v98
	v_mul_f32_e32 v0, v80, v99
	v_mul_f32_e32 v80, v49, v5
	;; [unrolled: 1-line block ×3, first 2 shown]
	v_fmac_f32_e32 v80, v93, v4
	v_fma_f32 v90, v49, v4, -v5
	v_mul_f32_e32 v4, v91, v71
	v_fma_f32 v91, v13, v70, -v4
	v_mul_f32_e32 v4, v76, v73
	s_waitcnt lgkmcnt(3)
	v_fma_f32 v94, v40, v72, -v4
	v_mul_f32_e32 v4, v89, v83
	v_fmac_f32_e32 v79, v95, v96
	v_fma_f32 v96, v11, v82, -v4
	v_mul_lo_u16_sdwa v4, v115, s2 dst_sel:DWORD dst_unused:UNUSED_PAD src0_sel:BYTE_0 src1_sel:DWORD
	v_lshrrev_b16_e32 v4, 11, v4
	v_mul_lo_u16_e32 v5, 10, v4
	v_sub_u16_e32 v5, v115, v5
	v_mul_u32_u24_sdwa v10, v5, v9 dst_sel:DWORD dst_unused:UNUSED_PAD src0_sel:BYTE_0 src1_sel:DWORD
	v_mul_f32_e32 v93, v40, v73
	v_mul_f32_e32 v95, v11, v83
	v_lshlrev_b32_e32 v40, 3, v10
	v_fmac_f32_e32 v93, v76, v72
	v_fmac_f32_e32 v95, v89, v82
	global_load_dwordx2 v[82:83], v40, s[4:5] offset:48
	global_load_dwordx4 v[70:73], v40, s[4:5] offset:32
	global_load_dwordx4 v[10:13], v40, s[4:5] offset:16
	global_load_dwordx4 v[86:89], v40, s[4:5]
	v_fma_f32 v0, v46, v98, -v0
	v_mul_f32_e32 v49, v32, v7
	v_fmac_f32_e32 v49, v24, v6
	v_mul_u32_u24_e32 v1, 0x50, v4
	v_or_b32_sdwa v1, v1, v5 dst_sel:DWORD dst_unused:UNUSED_PAD src0_sel:DWORD src1_sel:BYTE_0
	v_lshlrev_b32_e32 v1, 2, v1
	s_waitcnt vmcnt(3) lgkmcnt(0)
	v_mul_f32_e32 v102, v69, v83
	s_waitcnt vmcnt(2)
	v_mul_f32_e32 v99, v41, v73
	v_fmac_f32_e32 v99, v77, v72
	s_waitcnt vmcnt(0)
	v_mul_f32_e32 v97, v42, v87
	v_mul_f32_e32 v40, v78, v87
	v_fmac_f32_e32 v97, v78, v86
	v_fma_f32 v78, v42, v86, -v40
	v_mul_f32_e32 v86, v47, v89
	v_fmac_f32_e32 v86, v81, v88
	v_mul_f32_e32 v40, v81, v89
	v_mul_f32_e32 v81, v30, v11
	;; [unrolled: 1-line block ×3, first 2 shown]
	v_fmac_f32_e32 v81, v22, v10
	v_fma_f32 v87, v30, v10, -v11
	v_mul_f32_e32 v10, v74, v71
	v_mul_f32_e32 v89, v8, v71
	v_fma_f32 v98, v8, v70, -v10
	v_mul_f32_e32 v8, v77, v73
	v_fma_f32 v101, v41, v72, -v8
	;; [unrolled: 2-line block ×3, first 2 shown]
	v_mul_lo_u16_sdwa v8, v113, s2 dst_sel:DWORD dst_unused:UNUSED_PAD src0_sel:BYTE_0 src1_sel:DWORD
	v_lshrrev_b16_e32 v30, 11, v8
	v_mul_lo_u16_e32 v8, 10, v30
	v_sub_u16_e32 v42, v113, v8
	v_mul_u32_u24_sdwa v8, v42, v9 dst_sel:DWORD dst_unused:UNUSED_PAD src0_sel:BYTE_0 src1_sel:DWORD
	v_lshlrev_b32_e32 v22, 3, v8
	v_fma_f32 v40, v47, v88, -v40
	v_fmac_f32_e32 v89, v74, v70
	global_load_dwordx4 v[8:11], v22, s[4:5] offset:16
	global_load_dwordx2 v[46:47], v22, s[4:5] offset:48
	global_load_dwordx4 v[70:73], v22, s[4:5] offset:32
	global_load_dwordx4 v[74:77], v22, s[4:5]
	v_fmac_f32_e32 v102, v116, v82
	v_mul_f32_e32 v88, v33, v13
	v_fmac_f32_e32 v88, v25, v12
	v_cmp_lt_u32_e64 s[2:3], 9, v112
	s_waitcnt lgkmcnt(0)
	; wave barrier
	s_waitcnt vmcnt(0)
	v_mul_f32_e32 v22, v51, v75
	v_mul_f32_e32 v82, v37, v75
	v_fma_f32 v83, v37, v74, -v22
	v_mul_f32_e32 v37, v34, v77
	v_mul_f32_e32 v22, v44, v77
	;; [unrolled: 1-line block ×4, first 2 shown]
	v_fmac_f32_e32 v77, v45, v8
	v_fma_f32 v103, v35, v8, -v9
	v_mul_f32_e32 v35, v29, v71
	v_mul_f32_e32 v8, v19, v71
	v_fmac_f32_e32 v35, v19, v70
	v_fma_f32 v29, v29, v70, -v8
	v_mul_f32_e32 v19, v39, v73
	v_mul_f32_e32 v8, v55, v73
	v_fmac_f32_e32 v82, v51, v74
	v_fmac_f32_e32 v19, v55, v72
	v_fma_f32 v45, v39, v72, -v8
	v_mul_f32_e32 v55, v57, v47
	v_mul_f32_e32 v8, v111, v47
	v_sub_f32_e32 v51, v52, v62
	v_fmac_f32_e32 v37, v44, v76
	v_fma_f32 v44, v34, v76, -v22
	v_fmac_f32_e32 v55, v111, v46
	v_fma_f32 v47, v57, v46, -v8
	v_sub_f32_e32 v34, v110, v63
	v_sub_f32_e32 v8, v60, v67
	;; [unrolled: 1-line block ×4, first 2 shown]
	v_fma_f32 v22, v52, 2.0, -v51
	v_sub_f32_e32 v52, v59, v65
	v_fma_f32 v39, v110, 2.0, -v34
	v_fma_f32 v41, v60, 2.0, -v8
	;; [unrolled: 1-line block ×3, first 2 shown]
	v_sub_f32_e32 v58, v48, v66
	v_fma_f32 v59, v59, 2.0, -v52
	v_add_f32_e32 v61, v34, v9
	v_fma_f32 v48, v48, 2.0, -v58
	v_sub_f32_e32 v60, v39, v41
	v_fma_f32 v62, v34, 2.0, -v61
	v_sub_f32_e32 v34, v57, v59
	;; [unrolled: 2-line block ×3, first 2 shown]
	v_fma_f32 v48, v57, 2.0, -v34
	v_add_f32_e32 v57, v46, v58
	v_sub_f32_e32 v52, v51, v52
	v_fma_f32 v58, v46, 2.0, -v57
	v_fma_f32 v51, v51, 2.0, -v52
	v_fmamk_f32 v105, v58, 0xbf3504f3, v62
	v_fmac_f32_e32 v105, 0x3f3504f3, v51
	v_fmamk_f32 v116, v57, 0x3f3504f3, v61
	v_sub_f32_e32 v63, v53, v91
	v_sub_f32_e32 v70, v41, v48
	v_mul_f32_e32 v46, 0x3f3504f3, v51
	v_fma_f32 v107, v62, 2.0, -v105
	v_add_f32_e32 v110, v60, v39
	v_mul_f32_e32 v51, 0x3f3504f3, v52
	v_fmac_f32_e32 v116, 0x3f3504f3, v52
	v_sub_f32_e32 v52, v109, v49
	v_sub_f32_e32 v49, v85, v93
	;; [unrolled: 1-line block ×3, first 2 shown]
	v_fma_f32 v59, v53, 2.0, -v63
	v_sub_f32_e32 v53, v80, v95
	v_sub_f32_e32 v66, v90, v96
	v_fma_f32 v104, v41, 2.0, -v70
	v_mul_f32_e32 v41, 0x3f3504f3, v58
	v_fma_f32 v111, v60, 2.0, -v110
	v_mul_f32_e32 v48, 0x3f3504f3, v57
	v_fma_f32 v117, v61, 2.0, -v116
	v_fma_f32 v57, v109, 2.0, -v52
	v_sub_f32_e32 v58, v0, v94
	v_fma_f32 v60, v85, 2.0, -v49
	v_fma_f32 v65, v79, 2.0, -v62
	;; [unrolled: 1-line block ×4, first 2 shown]
	v_sub_f32_e32 v68, v57, v60
	v_add_f32_e32 v71, v52, v58
	v_sub_f32_e32 v60, v65, v61
	v_sub_f32_e32 v61, v59, v67
	v_add_f32_e32 v67, v62, v66
	v_fma_f32 v52, v52, 2.0, -v71
	v_sub_f32_e32 v53, v63, v53
	v_fma_f32 v66, v62, 2.0, -v67
	v_fma_f32 v72, v63, 2.0, -v53
	v_fmamk_f32 v85, v66, 0xbf3504f3, v52
	v_fmac_f32_e32 v85, 0x3f3504f3, v72
	v_fma_f32 v57, v57, 2.0, -v68
	v_fma_f32 v65, v65, 2.0, -v60
	;; [unrolled: 1-line block ×3, first 2 shown]
	v_fmamk_f32 v93, v67, 0x3f3504f3, v71
	v_sub_f32_e32 v52, v50, v88
	v_sub_f32_e32 v79, v57, v65
	v_mul_f32_e32 v62, 0x3f3504f3, v66
	v_mul_f32_e32 v63, 0x3f3504f3, v72
	;; [unrolled: 1-line block ×3, first 2 shown]
	v_fmac_f32_e32 v93, 0x3f3504f3, v53
	v_fma_f32 v53, v50, 2.0, -v52
	v_sub_f32_e32 v50, v86, v99
	v_sub_f32_e32 v72, v97, v89
	;; [unrolled: 1-line block ×3, first 2 shown]
	v_fma_f32 v80, v57, 2.0, -v79
	v_add_f32_e32 v91, v68, v61
	v_mul_f32_e32 v65, 0x3f3504f3, v67
	v_sub_f32_e32 v67, v40, v101
	v_fma_f32 v57, v86, 2.0, -v50
	v_sub_f32_e32 v73, v78, v98
	v_fma_f32 v74, v97, 2.0, -v72
	;; [unrolled: 2-line block ×3, first 2 shown]
	v_fma_f32 v92, v68, 2.0, -v91
	v_fma_f32 v94, v71, 2.0, -v93
	;; [unrolled: 1-line block ×4, first 2 shown]
	v_sub_f32_e32 v57, v53, v57
	v_add_f32_e32 v78, v52, v67
	v_sub_f32_e32 v69, v74, v69
	v_add_f32_e32 v76, v72, v76
	v_fma_f32 v53, v53, 2.0, -v57
	v_fma_f32 v52, v52, 2.0, -v78
	;; [unrolled: 1-line block ×3, first 2 shown]
	v_sub_f32_e32 v81, v73, v75
	v_fma_f32 v75, v72, 2.0, -v76
	v_sub_f32_e32 v71, v68, v71
	v_fma_f32 v86, v73, 2.0, -v81
	v_sub_f32_e32 v87, v53, v74
	v_fmamk_f32 v89, v75, 0xbf3504f3, v52
	v_fma_f32 v88, v53, 2.0, -v87
	v_fmac_f32_e32 v89, 0x3f3504f3, v86
	v_add_f32_e32 v95, v57, v71
	v_sub_f32_e32 v53, v82, v35
	v_sub_f32_e32 v47, v103, v47
	v_mul_f32_e32 v73, 0x3f3504f3, v86
	v_fma_f32 v86, v52, 2.0, -v89
	v_fma_f32 v96, v57, 2.0, -v95
	v_sub_f32_e32 v57, v83, v29
	v_sub_f32_e32 v55, v77, v55
	v_fma_f32 v52, v103, 2.0, -v47
	v_add_f32_e32 v47, v53, v47
	v_mul_f32_e32 v74, 0x3f3504f3, v76
	v_fmamk_f32 v97, v76, 0x3f3504f3, v78
	v_fma_f32 v76, v82, 2.0, -v53
	v_fma_f32 v29, v77, 2.0, -v55
	v_sub_f32_e32 v77, v57, v55
	v_fma_f32 v53, v53, 2.0, -v47
	v_fma_f32 v35, v83, 2.0, -v57
	;; [unrolled: 1-line block ×3, first 2 shown]
	v_mul_f32_e32 v55, 0x3f3504f3, v53
	v_mul_f32_e32 v53, 0x3f3504f3, v77
	v_mov_b32_e32 v77, 0x50
	v_cndmask_b32_e64 v77, 0, v77, s[2:3]
	v_or_b32_e32 v56, v77, v56
	v_lshlrev_b32_e32 v56, 2, v56
	v_add3_u32 v56, 0, v56, v64
	v_mul_f32_e32 v72, 0x3f3504f3, v75
	v_mul_f32_e32 v75, 0x3f3504f3, v81
	v_fmac_f32_e32 v97, 0x3f3504f3, v81
	v_sub_f32_e32 v19, v37, v19
	v_sub_f32_e32 v45, v44, v45
	;; [unrolled: 1-line block ×4, first 2 shown]
	v_mul_f32_e32 v57, 0x3f3504f3, v57
	v_mul_f32_e32 v47, 0x3f3504f3, v47
	ds_write2_b32 v56, v104, v107 offset1:10
	ds_write2_b32 v56, v111, v117 offset0:20 offset1:30
	ds_write2_b32 v56, v70, v105 offset0:40 offset1:50
	ds_write2_b32 v56, v110, v116 offset0:60 offset1:70
	v_add3_u32 v70, 0, v1, v64
	v_fma_f32 v78, v78, 2.0, -v97
	ds_write2_b32 v43, v80, v90 offset1:10
	ds_write2_b32 v43, v92, v94 offset0:20 offset1:30
	ds_write2_b32 v43, v79, v85 offset0:40 offset1:50
	;; [unrolled: 1-line block ×3, first 2 shown]
	ds_write2_b32 v70, v88, v86 offset1:10
	ds_write2_b32 v70, v96, v78 offset0:20 offset1:30
	ds_write2_b32 v70, v87, v89 offset0:40 offset1:50
	;; [unrolled: 1-line block ×3, first 2 shown]
	s_and_saveexec_b64 s[2:3], s[0:1]
	s_cbranch_execz .LBB0_19
; %bb.18:
	v_mul_f32_e32 v1, v28, v11
	v_fmac_f32_e32 v1, v18, v10
	v_sub_f32_e32 v1, v20, v1
	v_fma_f32 v20, v20, 2.0, -v1
	v_fma_f32 v37, v37, 2.0, -v19
	v_add_f32_e32 v4, v1, v45
	v_sub_f32_e32 v37, v20, v37
	v_add_f32_e32 v5, v4, v47
	v_add_f32_e32 v78, v37, v52
	;; [unrolled: 1-line block ×3, first 2 shown]
	v_fma_f32 v79, v37, 2.0, -v78
	v_fma_f32 v1, v1, 2.0, -v4
	;; [unrolled: 1-line block ×4, first 2 shown]
	v_mul_u32_u24_e32 v76, 0x50, v30
	v_fma_f32 v77, v4, 2.0, -v5
	v_sub_f32_e32 v4, v1, v55
	v_or_b32_sdwa v76, v76, v42 dst_sel:DWORD dst_unused:UNUSED_PAD src0_sel:DWORD src1_sel:BYTE_0
	v_add_f32_e32 v4, v57, v4
	v_sub_f32_e32 v37, v20, v37
	v_lshlrev_b32_e32 v76, 2, v76
	v_fma_f32 v1, v1, 2.0, -v4
	v_fma_f32 v20, v20, 2.0, -v37
	v_add3_u32 v76, 0, v76, v64
	ds_write2_b32 v76, v20, v1 offset1:10
	ds_write2_b32 v76, v79, v77 offset0:20 offset1:30
	ds_write2_b32 v76, v37, v4 offset0:40 offset1:50
	;; [unrolled: 1-line block ×3, first 2 shown]
.LBB0_19:
	s_or_b64 exec, exec, s[2:3]
	v_mul_f32_e32 v1, v23, v3
	v_fma_f32 v1, v31, v2, -v1
	v_sub_f32_e32 v1, v54, v1
	v_fma_f32 v4, v54, 2.0, -v1
	v_fma_f32 v5, v38, 2.0, -v9
	v_mul_f32_e32 v2, v24, v7
	v_sub_f32_e32 v5, v4, v5
	v_fma_f32 v2, v32, v6, -v2
	v_fma_f32 v4, v4, 2.0, -v5
	v_sub_f32_e32 v6, v1, v8
	v_fma_f32 v7, v22, 2.0, -v39
	v_fma_f32 v1, v1, 2.0, -v6
	v_sub_f32_e32 v31, v4, v7
	v_mul_f32_e32 v3, v25, v13
	v_fma_f32 v32, v4, 2.0, -v31
	v_sub_f32_e32 v4, v1, v46
	v_fma_f32 v3, v33, v12, -v3
	v_sub_f32_e32 v33, v4, v41
	v_fma_f32 v54, v1, 2.0, -v33
	v_add_f32_e32 v1, v6, v51
	v_sub_f32_e32 v78, v1, v48
	v_sub_f32_e32 v1, v36, v2
	v_fma_f32 v2, v36, 2.0, -v1
	v_fma_f32 v0, v0, 2.0, -v58
	v_sub_f32_e32 v76, v5, v34
	v_sub_f32_e32 v0, v2, v0
	v_fma_f32 v77, v5, 2.0, -v76
	v_fma_f32 v2, v2, 2.0, -v0
	v_sub_f32_e32 v4, v1, v49
	v_fma_f32 v5, v59, 2.0, -v61
	v_fma_f32 v1, v1, 2.0, -v4
	v_sub_f32_e32 v58, v2, v5
	v_sub_f32_e32 v80, v0, v60
	v_fma_f32 v59, v2, 2.0, -v58
	v_sub_f32_e32 v2, v1, v63
	v_fma_f32 v81, v0, 2.0, -v80
	v_add_f32_e32 v0, v4, v66
	v_sub_f32_e32 v62, v2, v62
	v_sub_f32_e32 v65, v0, v65
	;; [unrolled: 1-line block ×3, first 2 shown]
	v_fma_f32 v63, v1, 2.0, -v62
	v_fma_f32 v1, v27, 2.0, -v0
	v_fma_f32 v2, v40, 2.0, -v67
	v_sub_f32_e32 v2, v1, v2
	v_fma_f32 v66, v4, 2.0, -v65
	v_fma_f32 v1, v1, 2.0, -v2
	v_sub_f32_e32 v3, v0, v50
	v_fma_f32 v4, v68, 2.0, -v71
	v_fma_f32 v0, v0, 2.0, -v3
	v_sub_f32_e32 v27, v1, v4
	v_fma_f32 v67, v1, 2.0, -v27
	v_sub_f32_e32 v1, v0, v73
	v_sub_f32_e32 v68, v1, v72
	v_fma_f32 v71, v0, 2.0, -v68
	v_add_f32_e32 v0, v3, v75
	v_sub_f32_e32 v69, v2, v69
	v_sub_f32_e32 v73, v0, v74
	v_add_u32_e32 v8, 0x400, v21
	v_fma_f32 v79, v6, 2.0, -v78
	v_fma_f32 v72, v2, 2.0, -v69
	;; [unrolled: 1-line block ×3, first 2 shown]
	s_waitcnt lgkmcnt(0)
	; wave barrier
	s_waitcnt lgkmcnt(0)
	ds_read2_b32 v[0:1], v21 offset0:64 offset1:80
	ds_read2_b32 v[48:49], v21 offset0:160 offset1:176
	;; [unrolled: 1-line block ×6, first 2 shown]
	ds_read2_b32 v[40:41], v8 offset1:16
	ds_read2_b32 v[38:39], v8 offset0:160 offset1:176
	ds_read2_b32 v[24:25], v21 offset0:192 offset1:208
	;; [unrolled: 1-line block ×3, first 2 shown]
	v_add3_u32 v61, 0, v108, v64
	ds_read_b32 v60, v84
	ds_read_b32 v46, v100
	;; [unrolled: 1-line block ×4, first 2 shown]
	ds_read2_b32 v[2:3], v21 offset0:128 offset1:144
	ds_read2_b32 v[12:13], v8 offset0:32 offset1:48
	ds_read2_b32 v[8:9], v8 offset0:192 offset1:208
	s_waitcnt lgkmcnt(0)
	; wave barrier
	s_waitcnt lgkmcnt(0)
	ds_write2_b32 v56, v32, v54 offset1:10
	ds_write2_b32 v56, v77, v79 offset0:20 offset1:30
	ds_write2_b32 v56, v31, v33 offset0:40 offset1:50
	ds_write2_b32 v56, v76, v78 offset0:60 offset1:70
	ds_write2_b32 v43, v59, v63 offset1:10
	ds_write2_b32 v43, v81, v66 offset0:20 offset1:30
	ds_write2_b32 v43, v58, v62 offset0:40 offset1:50
	ds_write2_b32 v43, v80, v65 offset0:60 offset1:70
	ds_write2_b32 v70, v67, v71 offset1:10
	ds_write2_b32 v70, v72, v74 offset0:20 offset1:30
	ds_write2_b32 v70, v27, v68 offset0:40 offset1:50
	ds_write2_b32 v70, v69, v73 offset0:60 offset1:70
	s_and_saveexec_b64 s[2:3], s[0:1]
	s_cbranch_execz .LBB0_21
; %bb.20:
	v_mul_f32_e32 v11, v18, v11
	v_fma_f32 v10, v28, v10, -v11
	v_sub_f32_e32 v10, v26, v10
	v_fma_f32 v11, v26, 2.0, -v10
	v_fma_f32 v18, v44, 2.0, -v45
	v_sub_f32_e32 v19, v10, v19
	v_sub_f32_e32 v18, v11, v18
	v_fma_f32 v10, v10, 2.0, -v19
	v_mul_u32_u24_e32 v30, 0x50, v30
	v_fma_f32 v11, v11, 2.0, -v18
	v_fma_f32 v26, v35, 2.0, -v52
	v_sub_f32_e32 v27, v10, v57
	v_or_b32_sdwa v30, v30, v42 dst_sel:DWORD dst_unused:UNUSED_PAD src0_sel:DWORD src1_sel:BYTE_0
	v_sub_f32_e32 v26, v11, v26
	v_sub_f32_e32 v27, v27, v55
	;; [unrolled: 1-line block ×3, first 2 shown]
	v_add_f32_e32 v29, v19, v53
	v_lshlrev_b32_e32 v30, 2, v30
	v_fma_f32 v11, v11, 2.0, -v26
	v_fma_f32 v10, v10, 2.0, -v27
	v_sub_f32_e32 v29, v29, v47
	v_add3_u32 v30, 0, v30, v64
	v_fma_f32 v18, v18, 2.0, -v28
	v_fma_f32 v19, v19, 2.0, -v29
	ds_write2_b32 v30, v11, v10 offset1:10
	ds_write2_b32 v30, v18, v19 offset0:20 offset1:30
	ds_write2_b32 v30, v26, v27 offset0:40 offset1:50
	;; [unrolled: 1-line block ×3, first 2 shown]
.LBB0_21:
	s_or_b64 exec, exec, s[2:3]
	s_waitcnt lgkmcnt(0)
	; wave barrier
	s_waitcnt lgkmcnt(0)
	s_and_saveexec_b64 s[0:1], vcc
	s_cbranch_execz .LBB0_23
; %bb.22:
	v_or_b32_e32 v18, 64, v112
	v_mul_lo_u32 v10, s7, v16
	v_mad_u64_u32 v[76:77], s[0:1], s6, v16, 0
	v_mul_u32_u24_e32 v16, 5, v18
	v_mul_u32_u24_e32 v18, 5, v112
	v_mul_lo_u32 v11, s6, v17
	v_lshlrev_b32_e32 v67, 3, v18
	v_add3_u32 v77, v77, v11, v10
	ds_read2_b32 v[10:11], v21 offset0:64 offset1:80
	v_lshlrev_b32_e32 v66, 3, v16
	ds_read2_b32 v[16:17], v21 offset0:224 offset1:240
	global_load_dwordx4 v[68:71], v67, s[4:5] offset:576
	global_load_dwordx4 v[72:75], v67, s[4:5] offset:560
	v_mul_i32_i24_e32 v62, 5, v113
	v_mov_b32_e32 v63, 0
	v_lshl_add_u64 v[44:45], v[62:63], 3, s[4:5]
	v_mul_i32_i24_e32 v62, 5, v115
	v_add_u32_e32 v35, 0x400, v21
	v_lshl_add_u64 v[58:59], v[62:63], 3, s[4:5]
	v_mul_i32_i24_e32 v62, 5, v114
	ds_read2_b32 v[30:31], v35 offset0:128 offset1:144
	ds_read2_b32 v[18:19], v21 offset0:128 offset1:144
	;; [unrolled: 1-line block ×7, first 2 shown]
	ds_read2_b32 v[56:57], v35 offset1:16
	ds_read2_b32 v[54:55], v35 offset0:160 offset1:176
	ds_read2_b32 v[64:65], v21 offset0:160 offset1:176
	v_lshl_add_u64 v[78:79], v[62:63], 3, s[4:5]
	ds_read2_b32 v[62:63], v35 offset0:64 offset1:80
	ds_read_b32 v21, v61
	ds_read_b32 v35, v106
	;; [unrolled: 1-line block ×4, first 2 shown]
	global_load_dwordx2 v[80:81], v67, s[4:5] offset:592
	s_mov_b32 s6, 0xcccccccd
	v_mul_hi_u32 v82, v112, s6
	v_lshrrev_b32_e32 v67, 6, v82
	s_movk_i32 s7, 0x50
	v_mul_lo_u32 v67, v67, s7
	v_sub_u32_e32 v67, v112, v67
	v_mad_u64_u32 v[82:83], s[0:1], s16, v67, 0
	v_mov_b32_e32 v84, v83
	v_mad_u64_u32 v[84:85], s[0:1], s17, v67, v[84:85]
	v_lshl_add_u64 v[76:77], v[76:77], 3, s[10:11]
	v_mov_b32_e32 v83, v84
	v_lshl_add_u64 v[14:15], v[14:15], 3, v[76:77]
	v_add_u32_e32 v85, 0x50, v67
	v_lshl_add_u64 v[76:77], v[82:83], 3, v[14:15]
	v_mad_u64_u32 v[82:83], s[0:1], s16, v85, 0
	v_mov_b32_e32 v84, v83
	v_mad_u64_u32 v[84:85], s[0:1], s17, v85, v[84:85]
	v_add_u32_e32 v87, 0xa0, v67
	v_mov_b32_e32 v83, v84
	v_mad_u64_u32 v[84:85], s[0:1], s16, v87, 0
	v_mov_b32_e32 v86, v85
	v_mad_u64_u32 v[86:87], s[0:1], s17, v87, v[86:87]
	v_add_u32_e32 v89, 0xf0, v67
	v_mov_b32_e32 v85, v86
	;; [unrolled: 5-line block ×4, first 2 shown]
	v_mad_u64_u32 v[90:91], s[0:1], s16, v67, 0
	v_mov_b32_e32 v92, v91
	v_mad_u64_u32 v[92:93], s[0:1], s17, v67, v[92:93]
	v_mov_b32_e32 v91, v92
	s_mov_b32 s0, 0x3f5db3d7
	s_mov_b32 s1, 0.5
	s_mov_b32 s2, -0.5
	s_mov_b32 s3, s0
	v_lshl_add_u64 v[82:83], v[82:83], 3, v[14:15]
	v_lshl_add_u64 v[84:85], v[84:85], 3, v[14:15]
	s_movk_i32 s8, 0x1e0
	v_lshl_add_u64 v[86:87], v[86:87], 3, v[14:15]
	v_lshl_add_u64 v[88:89], v[88:89], 3, v[14:15]
	;; [unrolled: 1-line block ×3, first 2 shown]
	s_waitcnt vmcnt(1) lgkmcnt(5)
	v_pk_mul_f32 v[92:93], v[64:65], v[74:75] op_sel_hi:[0,1]
	v_pk_fma_f32 v[94:95], v[48:49], v[74:75], v[92:93] op_sel:[0,0,1] op_sel_hi:[1,1,0]
	v_pk_fma_f32 v[74:75], v[48:49], v[74:75], v[92:93] op_sel:[0,0,1] op_sel_hi:[0,1,0] neg_lo:[1,0,0] neg_hi:[1,0,0]
	v_mov_b32_e32 v95, v75
	s_waitcnt lgkmcnt(4)
	v_pk_mul_f32 v[74:75], v[62:63], v[70:71] op_sel_hi:[0,1]
	v_pk_fma_f32 v[92:93], v[50:51], v[70:71], v[74:75] op_sel:[0,0,1] op_sel_hi:[1,1,0]
	v_pk_fma_f32 v[70:71], v[50:51], v[70:71], v[74:75] op_sel:[0,0,1] op_sel_hi:[0,1,0] neg_lo:[1,0,0] neg_hi:[1,0,0]
	v_mov_b32_e32 v93, v71
	v_pk_add_f32 v[70:71], v[94:95], v[92:93]
	v_pk_add_f32 v[74:75], v[94:95], v[92:93] neg_lo:[0,1] neg_hi:[0,1]
	s_waitcnt lgkmcnt(0)
	v_pk_fma_f32 v[70:71], v[70:71], 0.5, v[60:61] op_sel_hi:[1,0,1] neg_lo:[1,0,0] neg_hi:[1,0,0]
	v_pk_mul_f32 v[74:75], v[74:75], s[0:1] op_sel_hi:[1,0]
	v_mov_b32_e32 v48, v17
	v_pk_add_f32 v[96:97], v[74:75], v[70:71] op_sel:[1,0] op_sel_hi:[0,1]
	v_pk_add_f32 v[98:99], v[70:71], v[74:75] op_sel:[0,1] op_sel_hi:[1,0] neg_lo:[0,1] neg_hi:[0,1]
	v_pk_mul_f32 v[70:71], v[48:49], v[68:69] op_sel_hi:[0,1]
	v_mov_b32_e32 v48, v7
	v_pk_fma_f32 v[74:75], v[48:49], v[68:69], v[70:71] op_sel:[0,0,1] op_sel_hi:[1,1,0]
	v_pk_fma_f32 v[68:69], v[48:49], v[68:69], v[70:71] op_sel:[0,0,1] op_sel_hi:[0,1,0] neg_lo:[1,0,0] neg_hi:[1,0,0]
	v_mov_b32_e32 v48, v31
	v_mov_b32_e32 v75, v69
	s_waitcnt vmcnt(0)
	v_pk_mul_f32 v[68:69], v[48:49], v[80:81] op_sel_hi:[0,1]
	v_mov_b32_e32 v48, v5
	v_pk_fma_f32 v[102:103], v[48:49], v[80:81], v[68:69] op_sel:[0,0,1] op_sel_hi:[1,1,0]
	v_pk_fma_f32 v[68:69], v[48:49], v[80:81], v[68:69] op_sel:[0,0,1] op_sel_hi:[0,1,0] neg_lo:[1,0,0] neg_hi:[1,0,0]
	v_mov_b32_e32 v48, v11
	v_mov_b32_e32 v103, v69
	v_pk_mul_f32 v[70:71], v[48:49], v[72:73] op_sel_hi:[0,1]
	v_mov_b32_e32 v48, v1
	v_pk_add_f32 v[68:69], v[74:75], v[102:103]
	v_pk_fma_f32 v[80:81], v[48:49], v[72:73], v[70:71] op_sel:[0,0,1] op_sel_hi:[0,1,0]
	v_pk_fma_f32 v[70:71], v[48:49], v[72:73], v[70:71] op_sel:[0,0,1] op_sel_hi:[0,1,0] neg_lo:[1,0,0] neg_hi:[1,0,0]
	v_mov_b32_e32 v81, v71
	v_pk_add_f32 v[72:73], v[74:75], v[102:103] neg_lo:[0,1] neg_hi:[0,1]
	v_fmac_f32_e32 v71, -0.5, v69
	v_mov_b32_e32 v1, v80
	v_fmamk_f32 v50, v72, 0xbf5db3d7, v71
	v_fmac_f32_e32 v71, 0x3f5db3d7, v72
	v_fmac_f32_e32 v1, -0.5, v68
	v_mul_f32_e32 v5, 0.5, v71
	v_mul_f32_e32 v7, 0xbf5db3d7, v71
	global_load_dwordx4 v[68:71], v[78:79], off offset:560
	v_fmamk_f32 v48, v73, 0x3f5db3d7, v1
	v_fmac_f32_e32 v1, 0xbf5db3d7, v73
	v_pk_add_f32 v[72:73], v[80:81], v[74:75]
	v_fmac_f32_e32 v5, 0x3f5db3d7, v1
	v_pk_add_f32 v[80:81], v[72:73], v[102:103]
	v_pk_mul_f32 v[72:73], v[50:51], s[0:1] op_sel_hi:[0,1]
	v_pk_fma_f32 v[104:105], v[48:49], s[2:3], v[72:73] op_sel_hi:[0,1,1] neg_lo:[0,0,1] neg_hi:[0,0,1]
	global_load_dwordx2 v[106:107], v[78:79], off offset:592
	global_load_dwordx4 v[72:75], v[78:79], off offset:576
	v_fmac_f32_e32 v7, 0.5, v1
	v_add_u32_e32 v1, 16, v112
	v_sub_f32_e32 v103, v97, v5
	v_pk_add_f32 v[60:61], v[60:61], v[94:95]
	v_add_f32_e32 v95, v97, v5
	v_mul_hi_u32 v5, v1, s6
	v_pk_add_f32 v[60:61], v[60:61], v[92:93]
	v_lshrrev_b32_e32 v5, 6, v5
	v_mov_b32_e32 v100, v96
	v_mov_b32_e32 v101, v99
	v_sub_f32_e32 v102, v98, v7
	v_pk_add_f32 v[92:93], v[60:61], v[80:81] neg_lo:[0,1] neg_hi:[0,1]
	v_add_f32_e32 v94, v98, v7
	v_pk_add_f32 v[60:61], v[60:61], v[80:81]
	v_mul_lo_u32 v7, v5, s7
	global_store_dwordx2 v[76:77], v[60:61], off
	global_store_dwordx2 v[82:83], v[94:95], off
	v_pk_add_f32 v[60:61], v[100:101], v[104:105]
	v_sub_u32_e32 v48, v1, v7
	v_pk_add_f32 v[78:79], v[100:101], v[104:105] neg_lo:[0,1] neg_hi:[0,1]
	global_store_dwordx2 v[84:85], v[60:61], off
	global_store_dwordx2 v[86:87], v[92:93], off
	;; [unrolled: 1-line block ×4, first 2 shown]
	v_mad_u64_u32 v[60:61], s[10:11], v5, s8, v[48:49]
	v_mad_u64_u32 v[76:77], s[10:11], s16, v60, 0
	v_mov_b32_e32 v48, v77
	v_mad_u64_u32 v[78:79], s[10:11], s17, v60, v[48:49]
	v_add_u32_e32 v1, 0x50, v60
	v_mov_b32_e32 v77, v78
	v_mad_u64_u32 v[78:79], s[10:11], s16, v1, 0
	v_mov_b32_e32 v48, v79
	v_mad_u64_u32 v[80:81], s[10:11], s17, v1, v[48:49]
	v_add_u32_e32 v1, 0xa0, v60
	v_mov_b32_e32 v79, v80
	;; [unrolled: 5-line block ×4, first 2 shown]
	v_mad_u64_u32 v[84:85], s[10:11], s16, v1, 0
	v_mov_b32_e32 v48, v85
	v_mad_u64_u32 v[86:87], s[10:11], s17, v1, v[48:49]
	v_add_u32_e32 v1, 0x190, v60
	v_mad_u64_u32 v[60:61], s[10:11], s16, v1, 0
	v_mov_b32_e32 v48, v61
	v_mov_b32_e32 v85, v86
	v_mad_u64_u32 v[86:87], s[10:11], s17, v1, v[48:49]
	v_mov_b32_e32 v61, v86
	v_mov_b32_e32 v48, v65
	v_lshl_add_u64 v[86:87], v[60:61], 3, v[14:15]
	v_mov_b32_e32 v50, v51
	global_load_dwordx2 v[64:65], v[58:59], off offset:592
	v_lshl_add_u64 v[76:77], v[76:77], 3, v[14:15]
	v_lshl_add_u64 v[78:79], v[78:79], 3, v[14:15]
	;; [unrolled: 1-line block ×4, first 2 shown]
	s_waitcnt vmcnt(9)
	v_pk_mul_f32 v[60:61], v[48:49], v[70:71] op_sel_hi:[0,1]
	v_mov_b32_e32 v48, v49
	v_pk_fma_f32 v[88:89], v[48:49], v[70:71], v[60:61] op_sel:[0,0,1] op_sel_hi:[1,1,0]
	v_pk_fma_f32 v[48:49], v[48:49], v[70:71], v[60:61] op_sel:[0,0,1] op_sel_hi:[0,1,0] neg_lo:[1,0,0] neg_hi:[1,0,0]
	v_mov_b32_e32 v48, v63
	v_mov_b32_e32 v89, v49
	v_lshl_add_u64 v[84:85], v[84:85], 3, v[14:15]
	s_waitcnt vmcnt(7)
	v_pk_mul_f32 v[48:49], v[48:49], v[74:75] op_sel_hi:[0,1]
	v_pk_fma_f32 v[70:71], v[50:51], v[74:75], v[48:49] op_sel:[0,0,1] op_sel_hi:[1,1,0]
	v_pk_fma_f32 v[48:49], v[50:51], v[74:75], v[48:49] op_sel:[0,0,1] op_sel_hi:[0,1,0] neg_lo:[1,0,0] neg_hi:[1,0,0]
	v_mov_b32_e32 v71, v49
	v_pk_add_f32 v[48:49], v[88:89], v[70:71]
	v_pk_add_f32 v[50:51], v[88:89], v[70:71] neg_lo:[0,1] neg_hi:[0,1]
	v_pk_fma_f32 v[48:49], v[48:49], 0.5, v[46:47] op_sel_hi:[1,0,1] neg_lo:[1,0,0] neg_hi:[1,0,0]
	v_pk_mul_f32 v[50:51], v[50:51], s[0:1] op_sel_hi:[1,0]
	v_pk_add_f32 v[46:47], v[46:47], v[88:89]
	v_pk_add_f32 v[74:75], v[50:51], v[48:49] op_sel:[1,0] op_sel_hi:[0,1]
	v_pk_add_f32 v[90:91], v[48:49], v[50:51] op_sel:[0,1] op_sel_hi:[1,0] neg_lo:[0,1] neg_hi:[0,1]
	v_pk_mul_f32 v[48:49], v[56:57], v[72:73] op_sel_hi:[0,1]
	v_pk_fma_f32 v[94:95], v[40:41], v[72:73], v[48:49] op_sel:[0,0,1] op_sel_hi:[1,1,0]
	v_pk_fma_f32 v[48:49], v[40:41], v[72:73], v[48:49] op_sel:[0,0,1] op_sel_hi:[0,1,0] neg_lo:[1,0,0] neg_hi:[1,0,0]
	v_mov_b32_e32 v95, v49
	v_pk_mul_f32 v[48:49], v[54:55], v[106:107] op_sel_hi:[0,1]
	v_pk_fma_f32 v[72:73], v[38:39], v[106:107], v[48:49] op_sel:[0,0,1] op_sel_hi:[1,1,0]
	v_pk_fma_f32 v[48:49], v[38:39], v[106:107], v[48:49] op_sel:[0,0,1] op_sel_hi:[0,1,0] neg_lo:[1,0,0] neg_hi:[1,0,0]
	v_pk_mul_f32 v[50:51], v[52:53], v[68:69] op_sel_hi:[0,1]
	v_mov_b32_e32 v73, v49
	v_pk_fma_f32 v[96:97], v[36:37], v[68:69], v[50:51] op_sel:[0,0,1] op_sel_hi:[0,1,0]
	v_pk_add_f32 v[48:49], v[94:95], v[72:73]
	v_pk_fma_f32 v[68:69], v[36:37], v[68:69], v[50:51] op_sel:[0,0,1] op_sel_hi:[0,1,0] neg_lo:[1,0,0] neg_hi:[1,0,0]
	v_mov_b32_e32 v1, v96
	v_mov_b32_e32 v97, v69
	v_fmac_f32_e32 v1, -0.5, v48
	v_fmac_f32_e32 v69, -0.5, v49
	global_load_dwordx4 v[48:51], v[58:59], off offset:576
	global_load_dwordx4 v[60:63], v[58:59], off offset:560
	v_pk_add_f32 v[98:99], v[94:95], v[72:73] neg_lo:[0,1] neg_hi:[0,1]
	v_pk_add_f32 v[58:59], v[96:97], v[94:95]
	v_fmamk_f32 v38, v98, 0xbf5db3d7, v69
	v_fmac_f32_e32 v69, 0x3f5db3d7, v98
	v_fmamk_f32 v36, v99, 0x3f5db3d7, v1
	v_fmac_f32_e32 v1, 0xbf5db3d7, v99
	v_mul_f32_e32 v5, 0.5, v69
	v_mul_f32_e32 v7, 0xbf5db3d7, v69
	v_fmac_f32_e32 v5, 0x3f5db3d7, v1
	v_fmac_f32_e32 v7, 0.5, v1
	v_add_u32_e32 v1, 32, v112
	v_sub_f32_e32 v69, v75, v5
	v_add_f32_e32 v75, v75, v5
	v_mul_hi_u32 v5, v1, s6
	v_pk_add_f32 v[58:59], v[58:59], v[72:73]
	v_pk_mul_f32 v[72:73], v[38:39], s[0:1] op_sel_hi:[0,1]
	v_pk_add_f32 v[46:47], v[46:47], v[70:71]
	v_lshrrev_b32_e32 v5, 6, v5
	v_mov_b32_e32 v92, v74
	v_mov_b32_e32 v93, v91
	v_pk_fma_f32 v[72:73], v[36:37], s[2:3], v[72:73] op_sel_hi:[0,1,1] neg_lo:[0,0,1] neg_hi:[0,0,1]
	v_sub_f32_e32 v68, v90, v7
	v_pk_add_f32 v[70:71], v[46:47], v[58:59] neg_lo:[0,1] neg_hi:[0,1]
	v_add_f32_e32 v74, v90, v7
	v_pk_add_f32 v[46:47], v[46:47], v[58:59]
	v_mul_lo_u32 v7, v5, s7
	global_store_dwordx2 v[76:77], v[46:47], off
	global_store_dwordx2 v[78:79], v[74:75], off
	v_pk_add_f32 v[46:47], v[92:93], v[72:73]
	v_sub_u32_e32 v36, v1, v7
	v_pk_add_f32 v[94:95], v[92:93], v[72:73] neg_lo:[0,1] neg_hi:[0,1]
	global_store_dwordx2 v[80:81], v[46:47], off
	global_store_dwordx2 v[82:83], v[70:71], off
	;; [unrolled: 1-line block ×4, first 2 shown]
	v_mad_u64_u32 v[46:47], s[10:11], v5, s8, v[36:37]
	v_mad_u64_u32 v[58:59], s[10:11], s16, v46, 0
	v_mov_b32_e32 v36, v59
	v_mad_u64_u32 v[68:69], s[10:11], s17, v46, v[36:37]
	v_add_u32_e32 v1, 0x50, v46
	v_mov_b32_e32 v59, v68
	v_mad_u64_u32 v[68:69], s[10:11], s16, v1, 0
	v_mov_b32_e32 v36, v69
	v_mad_u64_u32 v[70:71], s[10:11], s17, v1, v[36:37]
	v_add_u32_e32 v1, 0xa0, v46
	v_mov_b32_e32 v69, v70
	;; [unrolled: 5-line block ×4, first 2 shown]
	v_mad_u64_u32 v[74:75], s[10:11], s16, v1, 0
	v_mov_b32_e32 v36, v75
	v_mad_u64_u32 v[76:77], s[10:11], s17, v1, v[36:37]
	v_add_u32_e32 v1, 0x190, v46
	v_mad_u64_u32 v[46:47], s[10:11], s16, v1, 0
	v_mov_b32_e32 v36, v47
	v_mov_b32_e32 v75, v76
	v_mad_u64_u32 v[76:77], s[10:11], s17, v1, v[36:37]
	v_mov_b32_e32 v47, v76
	v_lshl_add_u64 v[76:77], v[46:47], 3, v[14:15]
	v_lshl_add_u64 v[58:59], v[58:59], 3, v[14:15]
	;; [unrolled: 1-line block ×5, first 2 shown]
	s_waitcnt vmcnt(6)
	v_pk_mul_f32 v[46:47], v[42:43], v[62:63] op_sel_hi:[0,1]
	v_pk_fma_f32 v[78:79], v[24:25], v[62:63], v[46:47] op_sel:[0,0,1] op_sel_hi:[1,1,0]
	v_pk_fma_f32 v[46:47], v[24:25], v[62:63], v[46:47] op_sel:[0,0,1] op_sel_hi:[0,1,0] neg_lo:[1,0,0] neg_hi:[1,0,0]
	v_mov_b32_e32 v79, v47
	v_pk_mul_f32 v[46:47], v[32:33], v[50:51] op_sel_hi:[0,1]
	v_pk_fma_f32 v[62:63], v[22:23], v[50:51], v[46:47] op_sel:[0,0,1] op_sel_hi:[1,1,0]
	v_pk_fma_f32 v[46:47], v[22:23], v[50:51], v[46:47] op_sel:[0,0,1] op_sel_hi:[0,1,0] neg_lo:[1,0,0] neg_hi:[1,0,0]
	v_mov_b32_e32 v63, v47
	v_pk_add_f32 v[46:47], v[78:79], v[62:63]
	v_pk_add_f32 v[50:51], v[78:79], v[62:63] neg_lo:[0,1] neg_hi:[0,1]
	v_pk_fma_f32 v[46:47], v[46:47], 0.5, v[34:35] op_sel_hi:[1,0,1] neg_lo:[1,0,0] neg_hi:[1,0,0]
	v_pk_mul_f32 v[50:51], v[50:51], s[0:1] op_sel_hi:[1,0]
	v_mov_b32_e32 v22, v57
	v_pk_add_f32 v[80:81], v[50:51], v[46:47] op_sel:[1,0] op_sel_hi:[0,1]
	v_pk_add_f32 v[50:51], v[46:47], v[50:51] op_sel:[0,1] op_sel_hi:[1,0] neg_lo:[0,1] neg_hi:[0,1]
	v_pk_mul_f32 v[46:47], v[22:23], v[48:49] op_sel_hi:[0,1]
	v_mov_b32_e32 v22, v41
	v_pk_fma_f32 v[56:57], v[22:23], v[48:49], v[46:47] op_sel:[0,0,1] op_sel_hi:[1,1,0]
	v_pk_fma_f32 v[40:41], v[22:23], v[48:49], v[46:47] op_sel:[0,0,1] op_sel_hi:[0,1,0] neg_lo:[1,0,0] neg_hi:[1,0,0]
	v_mov_b32_e32 v22, v55
	v_mov_b32_e32 v57, v41
	v_pk_mul_f32 v[40:41], v[22:23], v[64:65] op_sel_hi:[0,1]
	v_mov_b32_e32 v22, v39
	v_pk_fma_f32 v[46:47], v[22:23], v[64:65], v[40:41] op_sel:[0,0,1] op_sel_hi:[1,1,0]
	v_pk_fma_f32 v[38:39], v[22:23], v[64:65], v[40:41] op_sel:[0,0,1] op_sel_hi:[0,1,0] neg_lo:[1,0,0] neg_hi:[1,0,0]
	v_mov_b32_e32 v22, v53
	v_mov_b32_e32 v47, v39
	v_pk_mul_f32 v[40:41], v[22:23], v[60:61] op_sel_hi:[0,1]
	v_mov_b32_e32 v22, v37
	v_pk_add_f32 v[38:39], v[56:57], v[46:47]
	v_pk_fma_f32 v[48:49], v[22:23], v[60:61], v[40:41] op_sel:[0,0,1] op_sel_hi:[0,1,0]
	v_pk_fma_f32 v[36:37], v[22:23], v[60:61], v[40:41] op_sel:[0,0,1] op_sel_hi:[0,1,0] neg_lo:[1,0,0] neg_hi:[1,0,0]
	v_mov_b32_e32 v49, v37
	v_pk_add_f32 v[40:41], v[56:57], v[46:47] neg_lo:[0,1] neg_hi:[0,1]
	v_fmac_f32_e32 v37, -0.5, v39
	v_mov_b32_e32 v1, v48
	v_fmamk_f32 v24, v40, 0xbf5db3d7, v37
	v_fmac_f32_e32 v37, 0x3f5db3d7, v40
	v_fmac_f32_e32 v1, -0.5, v38
	v_mul_f32_e32 v5, 0.5, v37
	v_mul_f32_e32 v7, 0xbf5db3d7, v37
	global_load_dwordx4 v[36:39], v[44:45], off offset:560
	v_fmamk_f32 v22, v41, 0x3f5db3d7, v1
	v_fmac_f32_e32 v1, 0xbf5db3d7, v41
	v_pk_add_f32 v[40:41], v[48:49], v[56:57]
	v_fmac_f32_e32 v5, 0x3f5db3d7, v1
	v_pk_add_f32 v[40:41], v[40:41], v[46:47]
	v_pk_mul_f32 v[46:47], v[24:25], s[0:1] op_sel_hi:[0,1]
	v_pk_fma_f32 v[54:55], v[22:23], s[2:3], v[46:47] op_sel_hi:[0,1,1] neg_lo:[0,0,1] neg_hi:[0,0,1]
	global_load_dwordx2 v[56:57], v[44:45], off offset:592
	global_load_dwordx4 v[46:49], v[44:45], off offset:576
	v_fmac_f32_e32 v7, 0.5, v1
	v_add_u32_e32 v1, 48, v112
	v_mov_b32_e32 v83, v51
	v_sub_f32_e32 v53, v81, v5
	v_pk_add_f32 v[34:35], v[34:35], v[78:79]
	v_add_f32_e32 v51, v81, v5
	v_mul_hi_u32 v5, v1, s6
	v_pk_add_f32 v[34:35], v[34:35], v[62:63]
	v_lshrrev_b32_e32 v5, 6, v5
	v_mov_b32_e32 v82, v80
	v_sub_f32_e32 v52, v50, v7
	v_pk_add_f32 v[60:61], v[34:35], v[40:41] neg_lo:[0,1] neg_hi:[0,1]
	v_add_f32_e32 v50, v50, v7
	v_pk_add_f32 v[34:35], v[34:35], v[40:41]
	v_mul_lo_u32 v7, v5, s7
	global_store_dwordx2 v[58:59], v[34:35], off
	global_store_dwordx2 v[68:69], v[50:51], off
	v_pk_add_f32 v[34:35], v[82:83], v[54:55]
	v_sub_u32_e32 v22, v1, v7
	v_lshl_add_u64 v[74:75], v[74:75], 3, v[14:15]
	v_pk_add_f32 v[44:45], v[82:83], v[54:55] neg_lo:[0,1] neg_hi:[0,1]
	global_store_dwordx2 v[70:71], v[34:35], off
	global_store_dwordx2 v[72:73], v[60:61], off
	;; [unrolled: 1-line block ×4, first 2 shown]
	v_mad_u64_u32 v[34:35], s[10:11], v5, s8, v[22:23]
	v_mad_u64_u32 v[40:41], s[10:11], s16, v34, 0
	v_mov_b32_e32 v22, v41
	v_mad_u64_u32 v[44:45], s[10:11], s17, v34, v[22:23]
	v_add_u32_e32 v1, 0x50, v34
	v_mov_b32_e32 v41, v44
	v_mad_u64_u32 v[44:45], s[10:11], s16, v1, 0
	v_mov_b32_e32 v22, v45
	v_mad_u64_u32 v[50:51], s[10:11], s17, v1, v[22:23]
	v_add_u32_e32 v1, 0xa0, v34
	v_mov_b32_e32 v45, v50
	v_mad_u64_u32 v[50:51], s[10:11], s16, v1, 0
	v_mov_b32_e32 v22, v51
	v_mad_u64_u32 v[52:53], s[10:11], s17, v1, v[22:23]
	v_add_u32_e32 v1, 0xf0, v34
	v_mov_b32_e32 v51, v52
	v_mad_u64_u32 v[52:53], s[10:11], s16, v1, 0
	v_mov_b32_e32 v22, v53
	v_mad_u64_u32 v[54:55], s[10:11], s17, v1, v[22:23]
	v_add_u32_e32 v1, 0x140, v34
	v_mov_b32_e32 v53, v54
	v_mad_u64_u32 v[54:55], s[10:11], s16, v1, 0
	v_mov_b32_e32 v22, v55
	v_mad_u64_u32 v[58:59], s[10:11], s17, v1, v[22:23]
	v_add_u32_e32 v1, 0x190, v34
	v_mad_u64_u32 v[34:35], s[10:11], s16, v1, 0
	v_mov_b32_e32 v22, v35
	v_mov_b32_e32 v55, v58
	v_mad_u64_u32 v[58:59], s[10:11], s17, v1, v[22:23]
	v_mov_b32_e32 v35, v58
	v_mov_b32_e32 v22, v43
	v_lshl_add_u64 v[58:59], v[34:35], 3, v[14:15]
	global_load_dwordx2 v[42:43], v66, s[4:5] offset:592
	v_lshl_add_u64 v[40:41], v[40:41], 3, v[14:15]
	v_lshl_add_u64 v[44:45], v[44:45], 3, v[14:15]
	;; [unrolled: 1-line block ×4, first 2 shown]
	s_waitcnt vmcnt(9)
	v_pk_mul_f32 v[34:35], v[22:23], v[38:39] op_sel_hi:[0,1]
	v_mov_b32_e32 v22, v25
	v_pk_fma_f32 v[24:25], v[22:23], v[38:39], v[34:35] op_sel:[0,0,1] op_sel_hi:[0,1,0] neg_lo:[1,0,0] neg_hi:[1,0,0]
	v_pk_fma_f32 v[60:61], v[22:23], v[38:39], v[34:35] op_sel:[0,0,1] op_sel_hi:[1,1,0]
	v_mov_b32_e32 v24, v33
	v_mov_b32_e32 v61, v25
	;; [unrolled: 1-line block ×3, first 2 shown]
	v_lshl_add_u64 v[54:55], v[54:55], 3, v[14:15]
	s_waitcnt vmcnt(7)
	v_pk_mul_f32 v[24:25], v[48:49], v[24:25] op_sel_hi:[1,0]
	s_nop 0
	v_pk_fma_f32 v[38:39], v[22:23], v[48:49], v[24:25] op_sel:[0,0,1] op_sel_hi:[1,1,0]
	v_pk_fma_f32 v[22:23], v[22:23], v[48:49], v[24:25] op_sel:[0,0,1] op_sel_hi:[0,1,0] neg_lo:[1,0,0] neg_hi:[1,0,0]
	v_mov_b32_e32 v39, v23
	v_pk_add_f32 v[22:23], v[60:61], v[38:39]
	v_pk_add_f32 v[24:25], v[60:61], v[38:39] neg_lo:[0,1] neg_hi:[0,1]
	v_pk_fma_f32 v[22:23], v[22:23], 0.5, v[20:21] op_sel_hi:[1,0,1] neg_lo:[1,0,0] neg_hi:[1,0,0]
	v_pk_mul_f32 v[24:25], v[24:25], s[0:1] op_sel_hi:[1,0]
	v_pk_add_f32 v[20:21], v[20:21], v[60:61]
	v_pk_add_f32 v[48:49], v[24:25], v[22:23] op_sel:[1,0] op_sel_hi:[0,1]
	v_pk_add_f32 v[62:63], v[22:23], v[24:25] op_sel:[0,1] op_sel_hi:[1,0] neg_lo:[0,1] neg_hi:[0,1]
	v_pk_mul_f32 v[22:23], v[28:29], v[46:47] op_sel_hi:[0,1]
	v_pk_fma_f32 v[68:69], v[12:13], v[46:47], v[22:23] op_sel:[0,0,1] op_sel_hi:[1,1,0]
	v_pk_fma_f32 v[22:23], v[12:13], v[46:47], v[22:23] op_sel:[0,0,1] op_sel_hi:[0,1,0] neg_lo:[1,0,0] neg_hi:[1,0,0]
	v_mov_b32_e32 v69, v23
	v_pk_mul_f32 v[22:23], v[56:57], v[26:27] op_sel_hi:[1,0]
	v_pk_mul_f32 v[24:25], v[18:19], v[36:37] op_sel_hi:[0,1]
	v_pk_fma_f32 v[46:47], v[8:9], v[56:57], v[22:23] op_sel:[0,0,1] op_sel_hi:[1,1,0]
	v_pk_fma_f32 v[22:23], v[8:9], v[56:57], v[22:23] op_sel:[0,0,1] op_sel_hi:[0,1,0] neg_lo:[1,0,0] neg_hi:[1,0,0]
	v_mov_b32_e32 v47, v23
	v_pk_fma_f32 v[56:57], v[2:3], v[36:37], v[24:25] op_sel:[0,0,1] op_sel_hi:[0,1,0]
	v_pk_add_f32 v[22:23], v[68:69], v[46:47]
	v_pk_fma_f32 v[36:37], v[2:3], v[36:37], v[24:25] op_sel:[0,0,1] op_sel_hi:[0,1,0] neg_lo:[1,0,0] neg_hi:[1,0,0]
	v_mov_b32_e32 v1, v56
	v_mov_b32_e32 v57, v37
	v_fmac_f32_e32 v1, -0.5, v22
	v_fmac_f32_e32 v37, -0.5, v23
	global_load_dwordx4 v[22:25], v66, s[4:5] offset:576
	global_load_dwordx4 v[32:35], v66, s[4:5] offset:560
	v_pk_add_f32 v[70:71], v[68:69], v[46:47] neg_lo:[0,1] neg_hi:[0,1]
	v_pk_add_f32 v[20:21], v[20:21], v[38:39]
	v_fmamk_f32 v8, v70, 0xbf5db3d7, v37
	v_fmac_f32_e32 v37, 0x3f5db3d7, v70
	v_fmamk_f32 v2, v71, 0x3f5db3d7, v1
	v_fmac_f32_e32 v1, 0xbf5db3d7, v71
	v_mul_f32_e32 v5, 0.5, v37
	v_mul_f32_e32 v7, 0xbf5db3d7, v37
	v_fmac_f32_e32 v5, 0x3f5db3d7, v1
	v_fmac_f32_e32 v7, 0.5, v1
	v_pk_add_f32 v[36:37], v[56:57], v[68:69]
	v_pk_mul_f32 v[56:57], v[8:9], s[0:1] op_sel_hi:[0,1]
	v_add_u32_e32 v1, 64, v112
	v_pk_fma_f32 v[56:57], v[2:3], s[2:3], v[56:57] op_sel_hi:[0,1,1] neg_lo:[0,0,1] neg_hi:[0,0,1]
	v_mul_hi_u32 v2, v1, s6
	v_pk_add_f32 v[36:37], v[36:37], v[46:47]
	v_sub_f32_e32 v47, v49, v5
	v_add_f32_e32 v49, v49, v5
	v_lshrrev_b32_e32 v5, 6, v2
	v_mov_b32_e32 v64, v48
	v_mov_b32_e32 v65, v63
	v_pk_add_f32 v[38:39], v[20:21], v[36:37] neg_lo:[0,1] neg_hi:[0,1]
	v_pk_add_f32 v[20:21], v[20:21], v[36:37]
	v_mul_lo_u32 v2, v5, s7
	v_add_f32_e32 v48, v62, v7
	global_store_dwordx2 v[40:41], v[20:21], off
	global_store_dwordx2 v[44:45], v[48:49], off
	v_pk_add_f32 v[20:21], v[64:65], v[56:57]
	v_sub_u32_e32 v2, v1, v2
	v_pk_add_f32 v[66:67], v[64:65], v[56:57] neg_lo:[0,1] neg_hi:[0,1]
	v_sub_f32_e32 v46, v62, v7
	global_store_dwordx2 v[50:51], v[20:21], off
	global_store_dwordx2 v[52:53], v[38:39], off
	;; [unrolled: 1-line block ×4, first 2 shown]
	v_mad_u64_u32 v[20:21], s[4:5], v5, s8, v[2:3]
	v_mad_u64_u32 v[36:37], s[4:5], s16, v20, 0
	v_mov_b32_e32 v2, v37
	v_mad_u64_u32 v[38:39], s[4:5], s17, v20, v[2:3]
	v_add_u32_e32 v1, 0x50, v20
	v_mov_b32_e32 v37, v38
	v_mad_u64_u32 v[38:39], s[4:5], s16, v1, 0
	v_mov_b32_e32 v2, v39
	v_mad_u64_u32 v[40:41], s[4:5], s17, v1, v[2:3]
	v_add_u32_e32 v1, 0xa0, v20
	v_mov_b32_e32 v39, v40
	v_mad_u64_u32 v[40:41], s[4:5], s16, v1, 0
	v_mov_b32_e32 v2, v41
	v_mad_u64_u32 v[44:45], s[4:5], s17, v1, v[2:3]
	v_add_u32_e32 v1, 0xf0, v20
	v_mov_b32_e32 v41, v44
	v_mad_u64_u32 v[44:45], s[4:5], s16, v1, 0
	v_mov_b32_e32 v2, v45
	v_mad_u64_u32 v[46:47], s[4:5], s17, v1, v[2:3]
	v_add_u32_e32 v1, 0x140, v20
	v_mov_b32_e32 v45, v46
	v_mad_u64_u32 v[46:47], s[4:5], s16, v1, 0
	v_mov_b32_e32 v2, v47
	v_mad_u64_u32 v[48:49], s[4:5], s17, v1, v[2:3]
	v_add_u32_e32 v1, 0x190, v20
	v_mad_u64_u32 v[20:21], s[4:5], s16, v1, 0
	v_mov_b32_e32 v2, v21
	v_mov_b32_e32 v47, v48
	v_mad_u64_u32 v[48:49], s[4:5], s17, v1, v[2:3]
	v_mov_b32_e32 v21, v48
	v_lshl_add_u64 v[36:37], v[36:37], 3, v[14:15]
	v_lshl_add_u64 v[38:39], v[38:39], 3, v[14:15]
	;; [unrolled: 1-line block ×5, first 2 shown]
	s_waitcnt vmcnt(6)
	v_pk_mul_f32 v[16:17], v[34:35], v[16:17] op_sel_hi:[1,0]
	v_lshl_add_u64 v[14:15], v[20:21], 3, v[14:15]
	v_pk_fma_f32 v[20:21], v[6:7], v[34:35], v[16:17] op_sel:[0,0,1] op_sel_hi:[1,1,0]
	v_pk_fma_f32 v[6:7], v[6:7], v[34:35], v[16:17] op_sel:[0,0,1] op_sel_hi:[0,1,0] neg_lo:[1,0,0] neg_hi:[1,0,0]
	v_mov_b32_e32 v21, v7
	v_pk_mul_f32 v[6:7], v[24:25], v[30:31] op_sel_hi:[1,0]
	v_mov_b32_e32 v2, v29
	v_pk_fma_f32 v[16:17], v[4:5], v[24:25], v[6:7] op_sel:[0,0,1] op_sel_hi:[1,1,0]
	v_pk_fma_f32 v[4:5], v[4:5], v[24:25], v[6:7] op_sel:[0,0,1] op_sel_hi:[0,1,0] neg_lo:[1,0,0] neg_hi:[1,0,0]
	v_pk_mul_f32 v[24:25], v[22:23], v[2:3] op_sel_hi:[1,0]
	v_mov_b32_e32 v2, v13
	v_pk_fma_f32 v[28:29], v[2:3], v[22:23], v[24:25] op_sel:[0,0,1] op_sel_hi:[1,1,0]
	v_pk_fma_f32 v[12:13], v[2:3], v[22:23], v[24:25] op_sel:[0,0,1] op_sel_hi:[0,1,0] neg_lo:[1,0,0] neg_hi:[1,0,0]
	v_mov_b32_e32 v2, v27
	v_mov_b32_e32 v17, v5
	v_mov_b32_e32 v29, v13
	v_pk_mul_f32 v[12:13], v[42:43], v[2:3] op_sel_hi:[1,0]
	v_mov_b32_e32 v2, v9
	v_pk_add_f32 v[4:5], v[20:21], v[16:17]
	v_mov_b32_e32 v1, v10
	v_pk_add_f32 v[6:7], v[20:21], v[16:17] neg_lo:[0,1] neg_hi:[0,1]
	v_pk_fma_f32 v[22:23], v[2:3], v[42:43], v[12:13] op_sel:[0,0,1] op_sel_hi:[1,1,0]
	v_pk_fma_f32 v[8:9], v[2:3], v[42:43], v[12:13] op_sel:[0,0,1] op_sel_hi:[0,1,0] neg_lo:[1,0,0] neg_hi:[1,0,0]
	v_mov_b32_e32 v2, v19
	v_pk_fma_f32 v[4:5], v[4:5], 0.5, v[0:1] op_sel_hi:[1,0,1] neg_lo:[1,0,0] neg_hi:[1,0,0]
	v_pk_mul_f32 v[6:7], v[6:7], s[0:1] op_sel_hi:[1,0]
	v_mov_b32_e32 v23, v9
	v_pk_mul_f32 v[12:13], v[32:33], v[2:3] op_sel_hi:[1,0]
	v_mov_b32_e32 v2, v3
	v_pk_add_f32 v[10:11], v[6:7], v[4:5] op_sel:[1,0] op_sel_hi:[0,1]
	v_pk_add_f32 v[4:5], v[4:5], v[6:7] op_sel:[0,1] op_sel_hi:[1,0] neg_lo:[0,1] neg_hi:[0,1]
	v_pk_add_f32 v[8:9], v[28:29], v[22:23]
	v_pk_fma_f32 v[18:19], v[2:3], v[32:33], v[12:13] op_sel:[0,0,1] op_sel_hi:[0,1,0]
	v_pk_fma_f32 v[2:3], v[2:3], v[32:33], v[12:13] op_sel:[0,0,1] op_sel_hi:[0,1,0] neg_lo:[1,0,0] neg_hi:[1,0,0]
	v_mov_b32_e32 v7, v5
	v_mov_b32_e32 v19, v3
	;; [unrolled: 1-line block ×3, first 2 shown]
	v_pk_add_f32 v[12:13], v[28:29], v[22:23] neg_lo:[0,1] neg_hi:[0,1]
	v_fmac_f32_e32 v3, -0.5, v9
	v_fmac_f32_e32 v5, -0.5, v8
	v_fmamk_f32 v8, v12, 0xbf5db3d7, v3
	v_fmac_f32_e32 v3, 0x3f5db3d7, v12
	v_mov_b32_e32 v6, v10
	v_fmamk_f32 v2, v13, 0x3f5db3d7, v5
	v_fmac_f32_e32 v5, 0xbf5db3d7, v13
	v_mul_f32_e32 v10, 0.5, v3
	v_fmac_f32_e32 v10, 0x3f5db3d7, v5
	v_pk_add_f32 v[12:13], v[18:19], v[28:29]
	v_pk_add_f32 v[0:1], v[0:1], v[20:21]
	v_mul_f32_e32 v24, 0xbf5db3d7, v3
	v_pk_add_f32 v[12:13], v[12:13], v[22:23]
	v_sub_f32_e32 v3, v11, v10
	v_pk_mul_f32 v[8:9], v[8:9], s[0:1] op_sel_hi:[0,1]
	v_pk_add_f32 v[0:1], v[0:1], v[16:17]
	v_fmac_f32_e32 v24, 0.5, v5
	v_pk_fma_f32 v[8:9], v[2:3], s[2:3], v[8:9] op_sel_hi:[0,1,1] neg_lo:[0,0,1] neg_hi:[0,0,1]
	v_pk_add_f32 v[16:17], v[0:1], v[12:13] neg_lo:[0,1] neg_hi:[0,1]
	v_pk_add_f32 v[0:1], v[0:1], v[12:13]
	v_sub_f32_e32 v2, v4, v24
	v_add_f32_e32 v5, v11, v10
	v_add_f32_e32 v4, v4, v24
	global_store_dwordx2 v[36:37], v[0:1], off
	global_store_dwordx2 v[38:39], v[4:5], off
	v_pk_add_f32 v[0:1], v[6:7], v[8:9]
	v_pk_add_f32 v[18:19], v[6:7], v[8:9] neg_lo:[0,1] neg_hi:[0,1]
	global_store_dwordx2 v[40:41], v[0:1], off
	global_store_dwordx2 v[44:45], v[16:17], off
	global_store_dwordx2 v[46:47], v[2:3], off
	global_store_dwordx2 v[14:15], v[18:19], off
.LBB0_23:
	s_endpgm
	.section	.rodata,"a",@progbits
	.p2align	6, 0x0
	.amdhsa_kernel fft_rtc_back_len480_factors_10_8_6_wgs_64_tpt_16_halfLds_sp_op_CI_CI_sbrr_dirReg
		.amdhsa_group_segment_fixed_size 0
		.amdhsa_private_segment_fixed_size 0
		.amdhsa_kernarg_size 104
		.amdhsa_user_sgpr_count 2
		.amdhsa_user_sgpr_dispatch_ptr 0
		.amdhsa_user_sgpr_queue_ptr 0
		.amdhsa_user_sgpr_kernarg_segment_ptr 1
		.amdhsa_user_sgpr_dispatch_id 0
		.amdhsa_user_sgpr_kernarg_preload_length 0
		.amdhsa_user_sgpr_kernarg_preload_offset 0
		.amdhsa_user_sgpr_private_segment_size 0
		.amdhsa_uses_dynamic_stack 0
		.amdhsa_enable_private_segment 0
		.amdhsa_system_sgpr_workgroup_id_x 1
		.amdhsa_system_sgpr_workgroup_id_y 0
		.amdhsa_system_sgpr_workgroup_id_z 0
		.amdhsa_system_sgpr_workgroup_info 0
		.amdhsa_system_vgpr_workitem_id 0
		.amdhsa_next_free_vgpr 138
		.amdhsa_next_free_sgpr 32
		.amdhsa_accum_offset 140
		.amdhsa_reserve_vcc 1
		.amdhsa_float_round_mode_32 0
		.amdhsa_float_round_mode_16_64 0
		.amdhsa_float_denorm_mode_32 3
		.amdhsa_float_denorm_mode_16_64 3
		.amdhsa_dx10_clamp 1
		.amdhsa_ieee_mode 1
		.amdhsa_fp16_overflow 0
		.amdhsa_tg_split 0
		.amdhsa_exception_fp_ieee_invalid_op 0
		.amdhsa_exception_fp_denorm_src 0
		.amdhsa_exception_fp_ieee_div_zero 0
		.amdhsa_exception_fp_ieee_overflow 0
		.amdhsa_exception_fp_ieee_underflow 0
		.amdhsa_exception_fp_ieee_inexact 0
		.amdhsa_exception_int_div_zero 0
	.end_amdhsa_kernel
	.text
.Lfunc_end0:
	.size	fft_rtc_back_len480_factors_10_8_6_wgs_64_tpt_16_halfLds_sp_op_CI_CI_sbrr_dirReg, .Lfunc_end0-fft_rtc_back_len480_factors_10_8_6_wgs_64_tpt_16_halfLds_sp_op_CI_CI_sbrr_dirReg
                                        ; -- End function
	.section	.AMDGPU.csdata,"",@progbits
; Kernel info:
; codeLenInByte = 13880
; NumSgprs: 38
; NumVgprs: 138
; NumAgprs: 0
; TotalNumVgprs: 138
; ScratchSize: 0
; MemoryBound: 0
; FloatMode: 240
; IeeeMode: 1
; LDSByteSize: 0 bytes/workgroup (compile time only)
; SGPRBlocks: 4
; VGPRBlocks: 17
; NumSGPRsForWavesPerEU: 38
; NumVGPRsForWavesPerEU: 138
; AccumOffset: 140
; Occupancy: 3
; WaveLimiterHint : 1
; COMPUTE_PGM_RSRC2:SCRATCH_EN: 0
; COMPUTE_PGM_RSRC2:USER_SGPR: 2
; COMPUTE_PGM_RSRC2:TRAP_HANDLER: 0
; COMPUTE_PGM_RSRC2:TGID_X_EN: 1
; COMPUTE_PGM_RSRC2:TGID_Y_EN: 0
; COMPUTE_PGM_RSRC2:TGID_Z_EN: 0
; COMPUTE_PGM_RSRC2:TIDIG_COMP_CNT: 0
; COMPUTE_PGM_RSRC3_GFX90A:ACCUM_OFFSET: 34
; COMPUTE_PGM_RSRC3_GFX90A:TG_SPLIT: 0
	.text
	.p2alignl 6, 3212836864
	.fill 256, 4, 3212836864
	.type	__hip_cuid_5ecd3e9428f9ed3c,@object ; @__hip_cuid_5ecd3e9428f9ed3c
	.section	.bss,"aw",@nobits
	.globl	__hip_cuid_5ecd3e9428f9ed3c
__hip_cuid_5ecd3e9428f9ed3c:
	.byte	0                               ; 0x0
	.size	__hip_cuid_5ecd3e9428f9ed3c, 1

	.ident	"AMD clang version 19.0.0git (https://github.com/RadeonOpenCompute/llvm-project roc-6.4.0 25133 c7fe45cf4b819c5991fe208aaa96edf142730f1d)"
	.section	".note.GNU-stack","",@progbits
	.addrsig
	.addrsig_sym __hip_cuid_5ecd3e9428f9ed3c
	.amdgpu_metadata
---
amdhsa.kernels:
  - .agpr_count:     0
    .args:
      - .actual_access:  read_only
        .address_space:  global
        .offset:         0
        .size:           8
        .value_kind:     global_buffer
      - .offset:         8
        .size:           8
        .value_kind:     by_value
      - .actual_access:  read_only
        .address_space:  global
        .offset:         16
        .size:           8
        .value_kind:     global_buffer
      - .actual_access:  read_only
        .address_space:  global
        .offset:         24
        .size:           8
        .value_kind:     global_buffer
      - .actual_access:  read_only
        .address_space:  global
        .offset:         32
        .size:           8
        .value_kind:     global_buffer
      - .offset:         40
        .size:           8
        .value_kind:     by_value
      - .actual_access:  read_only
        .address_space:  global
        .offset:         48
        .size:           8
        .value_kind:     global_buffer
      - .actual_access:  read_only
        .address_space:  global
        .offset:         56
        .size:           8
        .value_kind:     global_buffer
      - .offset:         64
        .size:           4
        .value_kind:     by_value
      - .actual_access:  read_only
        .address_space:  global
        .offset:         72
        .size:           8
        .value_kind:     global_buffer
      - .actual_access:  read_only
        .address_space:  global
        .offset:         80
        .size:           8
        .value_kind:     global_buffer
      - .actual_access:  read_only
        .address_space:  global
        .offset:         88
        .size:           8
        .value_kind:     global_buffer
      - .actual_access:  write_only
        .address_space:  global
        .offset:         96
        .size:           8
        .value_kind:     global_buffer
    .group_segment_fixed_size: 0
    .kernarg_segment_align: 8
    .kernarg_segment_size: 104
    .language:       OpenCL C
    .language_version:
      - 2
      - 0
    .max_flat_workgroup_size: 64
    .name:           fft_rtc_back_len480_factors_10_8_6_wgs_64_tpt_16_halfLds_sp_op_CI_CI_sbrr_dirReg
    .private_segment_fixed_size: 0
    .sgpr_count:     38
    .sgpr_spill_count: 0
    .symbol:         fft_rtc_back_len480_factors_10_8_6_wgs_64_tpt_16_halfLds_sp_op_CI_CI_sbrr_dirReg.kd
    .uniform_work_group_size: 1
    .uses_dynamic_stack: false
    .vgpr_count:     138
    .vgpr_spill_count: 0
    .wavefront_size: 64
amdhsa.target:   amdgcn-amd-amdhsa--gfx950
amdhsa.version:
  - 1
  - 2
...

	.end_amdgpu_metadata
